;; amdgpu-corpus repo=ROCm/rocFFT kind=compiled arch=gfx1201 opt=O3
	.text
	.amdgcn_target "amdgcn-amd-amdhsa--gfx1201"
	.amdhsa_code_object_version 6
	.protected	fft_rtc_back_len825_factors_11_5_5_3_wgs_55_tpt_55_sp_op_CI_CI_sbrr_dirReg ; -- Begin function fft_rtc_back_len825_factors_11_5_5_3_wgs_55_tpt_55_sp_op_CI_CI_sbrr_dirReg
	.globl	fft_rtc_back_len825_factors_11_5_5_3_wgs_55_tpt_55_sp_op_CI_CI_sbrr_dirReg
	.p2align	8
	.type	fft_rtc_back_len825_factors_11_5_5_3_wgs_55_tpt_55_sp_op_CI_CI_sbrr_dirReg,@function
fft_rtc_back_len825_factors_11_5_5_3_wgs_55_tpt_55_sp_op_CI_CI_sbrr_dirReg: ; @fft_rtc_back_len825_factors_11_5_5_3_wgs_55_tpt_55_sp_op_CI_CI_sbrr_dirReg
; %bb.0:
	s_clause 0x2
	s_load_b128 s[12:15], s[0:1], 0x18
	s_load_b128 s[8:11], s[0:1], 0x0
	;; [unrolled: 1-line block ×3, first 2 shown]
	v_mul_u32_u24_e32 v1, 0x4a8, v0
	v_mov_b32_e32 v3, 0
	s_wait_kmcnt 0x0
	s_load_b64 s[18:19], s[12:13], 0x0
	s_load_b64 s[16:17], s[14:15], 0x0
	v_lshrrev_b32_e32 v1, 16, v1
	v_cmp_lt_u64_e64 s2, s[10:11], 2
	s_delay_alu instid0(VALU_DEP_2)
	v_add_nc_u32_e32 v5, ttmp9, v1
	v_mov_b32_e32 v1, 0
	v_mov_b32_e32 v2, 0
	;; [unrolled: 1-line block ×3, first 2 shown]
	s_and_b32 vcc_lo, exec_lo, s2
	s_cbranch_vccnz .LBB0_8
; %bb.1:
	s_load_b64 s[2:3], s[0:1], 0x10
	v_mov_b32_e32 v1, 0
	v_mov_b32_e32 v2, 0
	s_add_nc_u64 s[20:21], s[14:15], 8
	s_add_nc_u64 s[22:23], s[12:13], 8
	s_mov_b64 s[24:25], 1
	s_delay_alu instid0(VALU_DEP_1)
	v_dual_mov_b32 v45, v2 :: v_dual_mov_b32 v44, v1
	s_wait_kmcnt 0x0
	s_add_nc_u64 s[26:27], s[2:3], 8
	s_mov_b32 s3, 0
.LBB0_2:                                ; =>This Inner Loop Header: Depth=1
	s_load_b64 s[28:29], s[26:27], 0x0
                                        ; implicit-def: $vgpr46_vgpr47
	s_mov_b32 s2, exec_lo
	s_wait_kmcnt 0x0
	v_or_b32_e32 v4, s29, v6
	s_delay_alu instid0(VALU_DEP_1)
	v_cmpx_ne_u64_e32 0, v[3:4]
	s_wait_alu 0xfffe
	s_xor_b32 s30, exec_lo, s2
	s_cbranch_execz .LBB0_4
; %bb.3:                                ;   in Loop: Header=BB0_2 Depth=1
	s_cvt_f32_u32 s2, s28
	s_cvt_f32_u32 s31, s29
	s_sub_nc_u64 s[36:37], 0, s[28:29]
	s_wait_alu 0xfffe
	s_delay_alu instid0(SALU_CYCLE_1) | instskip(SKIP_1) | instid1(SALU_CYCLE_2)
	s_fmamk_f32 s2, s31, 0x4f800000, s2
	s_wait_alu 0xfffe
	v_s_rcp_f32 s2, s2
	s_delay_alu instid0(TRANS32_DEP_1) | instskip(SKIP_1) | instid1(SALU_CYCLE_2)
	s_mul_f32 s2, s2, 0x5f7ffffc
	s_wait_alu 0xfffe
	s_mul_f32 s31, s2, 0x2f800000
	s_wait_alu 0xfffe
	s_delay_alu instid0(SALU_CYCLE_2) | instskip(SKIP_1) | instid1(SALU_CYCLE_2)
	s_trunc_f32 s31, s31
	s_wait_alu 0xfffe
	s_fmamk_f32 s2, s31, 0xcf800000, s2
	s_cvt_u32_f32 s35, s31
	s_wait_alu 0xfffe
	s_delay_alu instid0(SALU_CYCLE_1) | instskip(SKIP_1) | instid1(SALU_CYCLE_2)
	s_cvt_u32_f32 s34, s2
	s_wait_alu 0xfffe
	s_mul_u64 s[38:39], s[36:37], s[34:35]
	s_wait_alu 0xfffe
	s_mul_hi_u32 s41, s34, s39
	s_mul_i32 s40, s34, s39
	s_mul_hi_u32 s2, s34, s38
	s_mul_i32 s33, s35, s38
	s_wait_alu 0xfffe
	s_add_nc_u64 s[40:41], s[2:3], s[40:41]
	s_mul_hi_u32 s31, s35, s38
	s_mul_hi_u32 s42, s35, s39
	s_add_co_u32 s2, s40, s33
	s_wait_alu 0xfffe
	s_add_co_ci_u32 s2, s41, s31
	s_mul_i32 s38, s35, s39
	s_add_co_ci_u32 s39, s42, 0
	s_wait_alu 0xfffe
	s_add_nc_u64 s[38:39], s[2:3], s[38:39]
	s_wait_alu 0xfffe
	v_add_co_u32 v4, s2, s34, s38
	s_delay_alu instid0(VALU_DEP_1) | instskip(SKIP_1) | instid1(VALU_DEP_1)
	s_cmp_lg_u32 s2, 0
	s_add_co_ci_u32 s35, s35, s39
	v_readfirstlane_b32 s34, v4
	s_wait_alu 0xfffe
	s_delay_alu instid0(VALU_DEP_1)
	s_mul_u64 s[36:37], s[36:37], s[34:35]
	s_wait_alu 0xfffe
	s_mul_hi_u32 s39, s34, s37
	s_mul_i32 s38, s34, s37
	s_mul_hi_u32 s2, s34, s36
	s_mul_i32 s33, s35, s36
	s_wait_alu 0xfffe
	s_add_nc_u64 s[38:39], s[2:3], s[38:39]
	s_mul_hi_u32 s31, s35, s36
	s_mul_hi_u32 s34, s35, s37
	s_wait_alu 0xfffe
	s_add_co_u32 s2, s38, s33
	s_add_co_ci_u32 s2, s39, s31
	s_mul_i32 s36, s35, s37
	s_add_co_ci_u32 s37, s34, 0
	s_wait_alu 0xfffe
	s_add_nc_u64 s[36:37], s[2:3], s[36:37]
	s_wait_alu 0xfffe
	v_add_co_u32 v4, s2, v4, s36
	s_delay_alu instid0(VALU_DEP_1) | instskip(SKIP_1) | instid1(VALU_DEP_1)
	s_cmp_lg_u32 s2, 0
	s_add_co_ci_u32 s2, s35, s37
	v_mul_hi_u32 v13, v5, v4
	s_wait_alu 0xfffe
	v_mad_co_u64_u32 v[7:8], null, v5, s2, 0
	v_mad_co_u64_u32 v[9:10], null, v6, v4, 0
	;; [unrolled: 1-line block ×3, first 2 shown]
	s_delay_alu instid0(VALU_DEP_3) | instskip(SKIP_1) | instid1(VALU_DEP_4)
	v_add_co_u32 v4, vcc_lo, v13, v7
	s_wait_alu 0xfffd
	v_add_co_ci_u32_e32 v7, vcc_lo, 0, v8, vcc_lo
	s_delay_alu instid0(VALU_DEP_2) | instskip(SKIP_1) | instid1(VALU_DEP_2)
	v_add_co_u32 v4, vcc_lo, v4, v9
	s_wait_alu 0xfffd
	v_add_co_ci_u32_e32 v4, vcc_lo, v7, v10, vcc_lo
	s_wait_alu 0xfffd
	v_add_co_ci_u32_e32 v7, vcc_lo, 0, v12, vcc_lo
	s_delay_alu instid0(VALU_DEP_2) | instskip(SKIP_1) | instid1(VALU_DEP_2)
	v_add_co_u32 v4, vcc_lo, v4, v11
	s_wait_alu 0xfffd
	v_add_co_ci_u32_e32 v9, vcc_lo, 0, v7, vcc_lo
	s_delay_alu instid0(VALU_DEP_2) | instskip(SKIP_1) | instid1(VALU_DEP_3)
	v_mul_lo_u32 v10, s29, v4
	v_mad_co_u64_u32 v[7:8], null, s28, v4, 0
	v_mul_lo_u32 v11, s28, v9
	s_delay_alu instid0(VALU_DEP_2) | instskip(NEXT) | instid1(VALU_DEP_2)
	v_sub_co_u32 v7, vcc_lo, v5, v7
	v_add3_u32 v8, v8, v11, v10
	s_delay_alu instid0(VALU_DEP_1) | instskip(SKIP_1) | instid1(VALU_DEP_1)
	v_sub_nc_u32_e32 v10, v6, v8
	s_wait_alu 0xfffd
	v_subrev_co_ci_u32_e64 v10, s2, s29, v10, vcc_lo
	v_add_co_u32 v11, s2, v4, 2
	s_wait_alu 0xf1ff
	v_add_co_ci_u32_e64 v12, s2, 0, v9, s2
	v_sub_co_u32 v13, s2, v7, s28
	v_sub_co_ci_u32_e32 v8, vcc_lo, v6, v8, vcc_lo
	s_wait_alu 0xf1ff
	v_subrev_co_ci_u32_e64 v10, s2, 0, v10, s2
	s_delay_alu instid0(VALU_DEP_3) | instskip(NEXT) | instid1(VALU_DEP_3)
	v_cmp_le_u32_e32 vcc_lo, s28, v13
	v_cmp_eq_u32_e64 s2, s29, v8
	s_wait_alu 0xfffd
	v_cndmask_b32_e64 v13, 0, -1, vcc_lo
	v_cmp_le_u32_e32 vcc_lo, s29, v10
	s_wait_alu 0xfffd
	v_cndmask_b32_e64 v14, 0, -1, vcc_lo
	v_cmp_le_u32_e32 vcc_lo, s28, v7
	;; [unrolled: 3-line block ×3, first 2 shown]
	s_wait_alu 0xfffd
	v_cndmask_b32_e64 v15, 0, -1, vcc_lo
	v_cmp_eq_u32_e32 vcc_lo, s29, v10
	s_wait_alu 0xf1ff
	s_delay_alu instid0(VALU_DEP_2)
	v_cndmask_b32_e64 v7, v15, v7, s2
	s_wait_alu 0xfffd
	v_cndmask_b32_e32 v10, v14, v13, vcc_lo
	v_add_co_u32 v13, vcc_lo, v4, 1
	s_wait_alu 0xfffd
	v_add_co_ci_u32_e32 v14, vcc_lo, 0, v9, vcc_lo
	s_delay_alu instid0(VALU_DEP_3) | instskip(SKIP_1) | instid1(VALU_DEP_2)
	v_cmp_ne_u32_e32 vcc_lo, 0, v10
	s_wait_alu 0xfffd
	v_cndmask_b32_e32 v8, v14, v12, vcc_lo
	v_cndmask_b32_e32 v10, v13, v11, vcc_lo
	v_cmp_ne_u32_e32 vcc_lo, 0, v7
	s_wait_alu 0xfffd
	s_delay_alu instid0(VALU_DEP_2)
	v_dual_cndmask_b32 v47, v9, v8 :: v_dual_cndmask_b32 v46, v4, v10
.LBB0_4:                                ;   in Loop: Header=BB0_2 Depth=1
	s_wait_alu 0xfffe
	s_and_not1_saveexec_b32 s2, s30
	s_cbranch_execz .LBB0_6
; %bb.5:                                ;   in Loop: Header=BB0_2 Depth=1
	v_cvt_f32_u32_e32 v4, s28
	s_sub_co_i32 s30, 0, s28
	v_mov_b32_e32 v47, v3
	s_delay_alu instid0(VALU_DEP_2) | instskip(NEXT) | instid1(TRANS32_DEP_1)
	v_rcp_iflag_f32_e32 v4, v4
	v_mul_f32_e32 v4, 0x4f7ffffe, v4
	s_delay_alu instid0(VALU_DEP_1) | instskip(SKIP_1) | instid1(VALU_DEP_1)
	v_cvt_u32_f32_e32 v4, v4
	s_wait_alu 0xfffe
	v_mul_lo_u32 v7, s30, v4
	s_delay_alu instid0(VALU_DEP_1) | instskip(NEXT) | instid1(VALU_DEP_1)
	v_mul_hi_u32 v7, v4, v7
	v_add_nc_u32_e32 v4, v4, v7
	s_delay_alu instid0(VALU_DEP_1) | instskip(NEXT) | instid1(VALU_DEP_1)
	v_mul_hi_u32 v4, v5, v4
	v_mul_lo_u32 v7, v4, s28
	v_add_nc_u32_e32 v8, 1, v4
	s_delay_alu instid0(VALU_DEP_2) | instskip(NEXT) | instid1(VALU_DEP_1)
	v_sub_nc_u32_e32 v7, v5, v7
	v_subrev_nc_u32_e32 v9, s28, v7
	v_cmp_le_u32_e32 vcc_lo, s28, v7
	s_wait_alu 0xfffd
	s_delay_alu instid0(VALU_DEP_2) | instskip(NEXT) | instid1(VALU_DEP_1)
	v_dual_cndmask_b32 v7, v7, v9 :: v_dual_cndmask_b32 v4, v4, v8
	v_cmp_le_u32_e32 vcc_lo, s28, v7
	s_delay_alu instid0(VALU_DEP_2) | instskip(SKIP_1) | instid1(VALU_DEP_1)
	v_add_nc_u32_e32 v8, 1, v4
	s_wait_alu 0xfffd
	v_cndmask_b32_e32 v46, v4, v8, vcc_lo
.LBB0_6:                                ;   in Loop: Header=BB0_2 Depth=1
	s_wait_alu 0xfffe
	s_or_b32 exec_lo, exec_lo, s2
	v_mul_lo_u32 v4, v47, s28
	s_delay_alu instid0(VALU_DEP_2)
	v_mul_lo_u32 v9, v46, s29
	s_load_b64 s[30:31], s[22:23], 0x0
	v_mad_co_u64_u32 v[7:8], null, v46, s28, 0
	s_load_b64 s[28:29], s[20:21], 0x0
	s_add_nc_u64 s[24:25], s[24:25], 1
	s_add_nc_u64 s[20:21], s[20:21], 8
	s_wait_alu 0xfffe
	v_cmp_ge_u64_e64 s2, s[24:25], s[10:11]
	s_add_nc_u64 s[22:23], s[22:23], 8
	s_add_nc_u64 s[26:27], s[26:27], 8
	v_add3_u32 v4, v8, v9, v4
	v_sub_co_u32 v5, vcc_lo, v5, v7
	s_wait_alu 0xfffd
	s_delay_alu instid0(VALU_DEP_2) | instskip(SKIP_2) | instid1(VALU_DEP_1)
	v_sub_co_ci_u32_e32 v4, vcc_lo, v6, v4, vcc_lo
	s_and_b32 vcc_lo, exec_lo, s2
	s_wait_kmcnt 0x0
	v_mul_lo_u32 v6, s30, v4
	v_mul_lo_u32 v7, s31, v5
	v_mad_co_u64_u32 v[1:2], null, s30, v5, v[1:2]
	v_mul_lo_u32 v4, s28, v4
	v_mul_lo_u32 v8, s29, v5
	v_mad_co_u64_u32 v[44:45], null, s28, v5, v[44:45]
	s_delay_alu instid0(VALU_DEP_4) | instskip(NEXT) | instid1(VALU_DEP_2)
	v_add3_u32 v2, v7, v2, v6
	v_add3_u32 v45, v8, v45, v4
	s_wait_alu 0xfffe
	s_cbranch_vccnz .LBB0_9
; %bb.7:                                ;   in Loop: Header=BB0_2 Depth=1
	v_dual_mov_b32 v5, v46 :: v_dual_mov_b32 v6, v47
	s_branch .LBB0_2
.LBB0_8:
	s_delay_alu instid0(VALU_DEP_2) | instskip(NEXT) | instid1(VALU_DEP_2)
	v_dual_mov_b32 v45, v2 :: v_dual_mov_b32 v44, v1
	v_dual_mov_b32 v47, v6 :: v_dual_mov_b32 v46, v5
.LBB0_9:
	s_load_b64 s[0:1], s[0:1], 0x28
	v_mul_hi_u32 v3, 0x4a7904b, v0
	s_lshl_b64 s[10:11], s[10:11], 3
                                        ; implicit-def: $vgpr48
                                        ; implicit-def: $vgpr51
	s_wait_kmcnt 0x0
	v_cmp_gt_u64_e32 vcc_lo, s[0:1], v[46:47]
	v_cmp_le_u64_e64 s0, s[0:1], v[46:47]
	s_delay_alu instid0(VALU_DEP_1)
	s_and_saveexec_b32 s1, s0
	s_wait_alu 0xfffe
	s_xor_b32 s0, exec_lo, s1
; %bb.10:
	v_mul_u32_u24_e32 v1, 55, v3
                                        ; implicit-def: $vgpr3
	s_delay_alu instid0(VALU_DEP_1) | instskip(NEXT) | instid1(VALU_DEP_1)
	v_sub_nc_u32_e32 v48, v0, v1
                                        ; implicit-def: $vgpr0
                                        ; implicit-def: $vgpr1_vgpr2
	v_add_nc_u32_e32 v51, 55, v48
; %bb.11:
	s_wait_alu 0xfffe
	s_or_saveexec_b32 s1, s0
	s_add_nc_u64 s[2:3], s[14:15], s[10:11]
	s_wait_alu 0xfffe
	s_xor_b32 exec_lo, exec_lo, s1
	s_cbranch_execz .LBB0_13
; %bb.12:
	s_add_nc_u64 s[10:11], s[12:13], s[10:11]
	v_mul_u32_u24_e32 v3, 55, v3
	s_load_b64 s[10:11], s[10:11], 0x0
	s_delay_alu instid0(VALU_DEP_1) | instskip(SKIP_1) | instid1(VALU_DEP_2)
	v_sub_nc_u32_e32 v48, v0, v3
	v_lshlrev_b64_e32 v[0:1], 3, v[1:2]
	v_add_nc_u32_e32 v51, 55, v48
	v_mad_co_u64_u32 v[2:3], null, s18, v48, 0
	v_add_nc_u32_e32 v17, 0x6e, v48
	v_add_nc_u32_e32 v19, 0xdc, v48
	s_delay_alu instid0(VALU_DEP_4) | instskip(SKIP_1) | instid1(VALU_DEP_4)
	v_mad_co_u64_u32 v[4:5], null, s18, v51, 0
	v_add_nc_u32_e32 v18, 0xa5, v48
	v_mad_co_u64_u32 v[6:7], null, s18, v17, 0
	v_add_nc_u32_e32 v23, 0x1b8, v48
	s_wait_kmcnt 0x0
	v_mul_lo_u32 v15, s11, v46
	v_mul_lo_u32 v16, s10, v47
	v_mad_co_u64_u32 v[8:9], null, s10, v46, 0
	v_mad_co_u64_u32 v[12:13], null, s19, v48, v[3:4]
	v_mov_b32_e32 v3, v5
	v_mad_co_u64_u32 v[10:11], null, s18, v18, 0
	v_mov_b32_e32 v5, v7
	v_add3_u32 v9, v9, v16, v15
	s_delay_alu instid0(VALU_DEP_4) | instskip(SKIP_1) | instid1(VALU_DEP_3)
	v_mad_co_u64_u32 v[15:16], null, s19, v51, v[3:4]
	v_dual_mov_b32 v3, v12 :: v_dual_add_nc_u32 v20, 0x181, v48
	v_lshlrev_b64_e32 v[8:9], 3, v[8:9]
	v_mov_b32_e32 v7, v11
	v_mad_co_u64_u32 v[11:12], null, s19, v17, v[5:6]
	v_mad_co_u64_u32 v[13:14], null, s18, v19, 0
	s_delay_alu instid0(VALU_DEP_3) | instskip(SKIP_4) | instid1(VALU_DEP_3)
	v_mad_co_u64_u32 v[16:17], null, s19, v18, v[7:8]
	v_add_co_u32 v7, s0, s4, v8
	s_wait_alu 0xf1ff
	v_add_co_ci_u32_e64 v8, s0, s5, v9, s0
	v_mov_b32_e32 v5, v15
	v_add_co_u32 v37, s0, v7, v0
	v_mov_b32_e32 v7, v11
	v_lshlrev_b64_e32 v[2:3], 3, v[2:3]
	s_wait_alu 0xf1ff
	v_add_co_ci_u32_e64 v38, s0, v8, v1, s0
	v_lshlrev_b64_e32 v[0:1], 3, v[4:5]
	v_lshlrev_b64_e32 v[5:6], 3, v[6:7]
	v_dual_mov_b32 v11, v16 :: v_dual_mov_b32 v4, v14
	v_add_nc_u32_e32 v12, 0x113, v48
	v_add_co_u32 v2, s0, v37, v2
	s_wait_alu 0xf1ff
	v_add_co_ci_u32_e64 v3, s0, v38, v3, s0
	v_lshlrev_b64_e32 v[7:8], 3, v[10:11]
	v_mad_co_u64_u32 v[9:10], null, s19, v19, v[4:5]
	v_add_co_u32 v0, s0, v37, v0
	v_mad_co_u64_u32 v[10:11], null, s18, v12, 0
	s_wait_alu 0xf1ff
	v_add_co_ci_u32_e64 v1, s0, v38, v1, s0
	v_add_co_u32 v4, s0, v37, v5
	s_wait_alu 0xf1ff
	v_add_co_ci_u32_e64 v5, s0, v38, v6, s0
	v_add_nc_u32_e32 v19, 0x14a, v48
	v_add_co_u32 v6, s0, v37, v7
	s_wait_alu 0xf1ff
	v_add_co_ci_u32_e64 v7, s0, v38, v8, s0
	v_mov_b32_e32 v8, v11
	v_mad_co_u64_u32 v[15:16], null, s18, v19, 0
	v_mov_b32_e32 v14, v9
	v_mad_co_u64_u32 v[17:18], null, s18, v20, 0
	s_delay_alu instid0(VALU_DEP_4) | instskip(NEXT) | instid1(VALU_DEP_3)
	v_mad_co_u64_u32 v[8:9], null, s19, v12, v[8:9]
	v_lshlrev_b64_e32 v[12:13], 3, v[13:14]
	v_dual_mov_b32 v9, v16 :: v_dual_add_nc_u32 v30, 0x294, v48
	s_clause 0x3
	global_load_b64 v[2:3], v[2:3], off
	global_load_b64 v[0:1], v[0:1], off
	;; [unrolled: 1-line block ×4, first 2 shown]
	v_add_nc_u32_e32 v25, 0x226, v48
	v_add_nc_u32_e32 v27, 0x25d, v48
	v_mov_b32_e32 v11, v8
	v_mad_co_u64_u32 v[8:9], null, s19, v19, v[9:10]
	v_mov_b32_e32 v9, v18
	v_add_co_u32 v12, s0, v37, v12
	s_delay_alu instid0(VALU_DEP_4) | instskip(SKIP_4) | instid1(VALU_DEP_4)
	v_lshlrev_b64_e32 v[10:11], 3, v[10:11]
	s_wait_alu 0xf1ff
	v_add_co_ci_u32_e64 v13, s0, v38, v13, s0
	v_mov_b32_e32 v16, v8
	v_add_nc_u32_e32 v36, 0x302, v48
	v_mad_co_u64_u32 v[8:9], null, s19, v20, v[9:10]
	v_mad_co_u64_u32 v[19:20], null, s18, v23, 0
	v_add_co_u32 v9, s0, v37, v10
	s_wait_alu 0xf1ff
	v_add_co_ci_u32_e64 v10, s0, v38, v11, s0
	s_delay_alu instid0(VALU_DEP_4) | instskip(SKIP_2) | instid1(VALU_DEP_3)
	v_dual_mov_b32 v18, v8 :: v_dual_add_nc_u32 v11, 0x1ef, v48
	v_lshlrev_b64_e32 v[14:15], 3, v[15:16]
	v_mov_b32_e32 v8, v20
	v_mad_co_u64_u32 v[21:22], null, s18, v11, 0
	s_delay_alu instid0(VALU_DEP_4) | instskip(NEXT) | instid1(VALU_DEP_3)
	v_lshlrev_b64_e32 v[16:17], 3, v[17:18]
	v_mad_co_u64_u32 v[23:24], null, s19, v23, v[8:9]
	v_add_co_u32 v14, s0, v37, v14
	s_wait_alu 0xf1ff
	v_add_co_ci_u32_e64 v15, s0, v38, v15, s0
	v_mov_b32_e32 v8, v22
	v_add_co_u32 v16, s0, v37, v16
	s_wait_alu 0xf1ff
	v_add_co_ci_u32_e64 v17, s0, v38, v17, s0
	v_mov_b32_e32 v20, v23
	v_mad_co_u64_u32 v[22:23], null, s19, v11, v[8:9]
	s_clause 0x3
	global_load_b64 v[11:12], v[12:13], off
	global_load_b64 v[8:9], v[9:10], off
	;; [unrolled: 1-line block ×4, first 2 shown]
	v_mad_co_u64_u32 v[23:24], null, s18, v25, 0
	v_lshlrev_b64_e32 v[17:18], 3, v[19:20]
	v_mad_co_u64_u32 v[19:20], null, s18, v27, 0
	s_delay_alu instid0(VALU_DEP_3) | instskip(NEXT) | instid1(VALU_DEP_3)
	v_mov_b32_e32 v10, v24
	v_add_co_u32 v17, s0, v37, v17
	s_wait_alu 0xf1ff
	s_delay_alu instid0(VALU_DEP_4)
	v_add_co_ci_u32_e64 v18, s0, v38, v18, s0
	s_wait_loadcnt 0x3
	v_mad_co_u64_u32 v[24:25], null, s19, v25, v[10:11]
	v_mad_co_u64_u32 v[25:26], null, s18, v30, 0
	v_mov_b32_e32 v10, v20
	v_lshlrev_b64_e32 v[20:21], 3, v[21:22]
	s_delay_alu instid0(VALU_DEP_2) | instskip(NEXT) | instid1(VALU_DEP_4)
	v_mad_co_u64_u32 v[27:28], null, s19, v27, v[10:11]
	v_mov_b32_e32 v10, v26
	s_delay_alu instid0(VALU_DEP_3) | instskip(SKIP_1) | instid1(VALU_DEP_4)
	v_add_co_u32 v33, s0, v37, v20
	s_wait_alu 0xf1ff
	v_add_co_ci_u32_e64 v34, s0, v38, v21, s0
	s_delay_alu instid0(VALU_DEP_3)
	v_mad_co_u64_u32 v[30:31], null, s19, v30, v[10:11]
	v_mad_co_u64_u32 v[31:32], null, s18, v36, 0
	v_add_nc_u32_e32 v35, 0x2cb, v48
	v_lshlrev_b64_e32 v[21:22], 3, v[23:24]
	v_mov_b32_e32 v20, v27
	v_mov_b32_e32 v26, v30
	s_delay_alu instid0(VALU_DEP_4) | instskip(NEXT) | instid1(VALU_DEP_3)
	v_mad_co_u64_u32 v[28:29], null, s18, v35, 0
	v_lshlrev_b64_e32 v[19:20], 3, v[19:20]
	v_add_co_u32 v21, s0, v37, v21
	s_wait_alu 0xf1ff
	v_add_co_ci_u32_e64 v22, s0, v38, v22, s0
	s_delay_alu instid0(VALU_DEP_4) | instskip(NEXT) | instid1(VALU_DEP_4)
	v_mov_b32_e32 v10, v29
	v_add_co_u32 v19, s0, v37, v19
	s_wait_alu 0xf1ff
	v_add_co_ci_u32_e64 v20, s0, v38, v20, s0
	s_delay_alu instid0(VALU_DEP_3) | instskip(SKIP_2) | instid1(VALU_DEP_3)
	v_mad_co_u64_u32 v[23:24], null, s19, v35, v[10:11]
	v_mov_b32_e32 v10, v32
	v_lshlrev_b64_e32 v[24:25], 3, v[25:26]
	v_mov_b32_e32 v29, v23
	s_delay_alu instid0(VALU_DEP_3) | instskip(SKIP_1) | instid1(VALU_DEP_4)
	v_mad_co_u64_u32 v[35:36], null, s19, v36, v[10:11]
	v_lshl_add_u32 v10, v48, 3, 0
	v_add_co_u32 v23, s0, v37, v24
	s_delay_alu instid0(VALU_DEP_4) | instskip(SKIP_3) | instid1(VALU_DEP_3)
	v_lshlrev_b64_e32 v[26:27], 3, v[28:29]
	s_wait_alu 0xf1ff
	v_add_co_ci_u32_e64 v24, s0, v38, v25, s0
	v_mov_b32_e32 v32, v35
	v_add_co_u32 v25, s0, v37, v26
	s_delay_alu instid0(VALU_DEP_2) | instskip(SKIP_4) | instid1(VALU_DEP_4)
	v_lshlrev_b64_e32 v[28:29], 3, v[31:32]
	v_add_nc_u32_e32 v31, 0x400, v10
	s_wait_alu 0xf1ff
	v_add_co_ci_u32_e64 v26, s0, v38, v27, s0
	v_add_nc_u32_e32 v32, 0x800, v10
	v_add_co_u32 v27, s0, v37, v28
	s_wait_alu 0xf1ff
	v_add_co_ci_u32_e64 v28, s0, v38, v29, s0
	s_clause 0x6
	global_load_b64 v[17:18], v[17:18], off
	global_load_b64 v[29:30], v[33:34], off
	;; [unrolled: 1-line block ×7, first 2 shown]
	v_add_nc_u32_e32 v33, 0x1000, v10
	ds_store_2addr_b64 v10, v[2:3], v[0:1] offset1:55
	ds_store_2addr_b64 v10, v[4:5], v[6:7] offset0:110 offset1:165
	s_wait_loadcnt 0x9
	ds_store_2addr_b64 v31, v[11:12], v[8:9] offset0:92 offset1:147
	s_wait_loadcnt 0x7
	;; [unrolled: 2-line block ×6, first 2 shown]
	ds_store_b64 v10, v[27:28] offset:6160
.LBB0_13:
	s_or_b32 exec_lo, exec_lo, s1
	v_lshl_add_u32 v49, v48, 3, 0
	s_load_b64 s[2:3], s[2:3], 0x0
	global_wb scope:SCOPE_SE
	s_wait_dscnt 0x0
	s_wait_kmcnt 0x0
	s_barrier_signal -1
	s_barrier_wait -1
	global_inv scope:SCOPE_SE
	ds_load_2addr_b64 v[0:3], v49 offset1:55
	ds_load_2addr_b64 v[28:31], v49 offset0:75 offset1:130
	ds_load_2addr_b64 v[40:43], v49 offset0:150 offset1:205
	v_add_nc_u32_e32 v50, 0x1400, v49
	s_mov_b32 s1, exec_lo
	s_wait_dscnt 0x1
	v_dual_add_f32 v55, v0, v28 :: v_dual_add_nc_u32 v54, 0x400, v49
	s_wait_dscnt 0x0
	s_delay_alu instid0(VALU_DEP_1)
	v_add_f32_e32 v55, v55, v40
	ds_load_2addr_b64 v[4:7], v50 offset0:110 offset1:165
	ds_load_2addr_b64 v[36:39], v54 offset0:97 offset1:152
	v_add_nc_u32_e32 v52, 0x800, v49
	v_add_nc_u32_e32 v53, 0x1000, v49
	s_wait_dscnt 0x1
	v_dual_add_f32 v56, v1, v29 :: v_dual_add_f32 v57, v4, v28
	s_wait_dscnt 0x0
	v_add_f32_e32 v55, v55, v36
	ds_load_2addr_b64 v[32:35], v52 offset0:44 offset1:99
	ds_load_2addr_b64 v[24:27], v52 offset0:119 offset1:174
	;; [unrolled: 1-line block ×3, first 2 shown]
	v_sub_f32_e32 v28, v28, v4
	ds_load_2addr_b64 v[16:19], v53 offset0:13 offset1:68
	ds_load_2addr_b64 v[12:15], v53 offset0:88 offset1:143
	;; [unrolled: 1-line block ×3, first 2 shown]
	v_sub_f32_e32 v58, v29, v5
	v_add_f32_e32 v29, v5, v29
	global_wb scope:SCOPE_SE
	s_wait_dscnt 0x0
	s_barrier_signal -1
	s_barrier_wait -1
	global_inv scope:SCOPE_SE
	v_dual_add_f32 v55, v55, v32 :: v_dual_add_f32 v56, v56, v41
	v_mul_f32_e32 v59, 0xbf0a6770, v58
	v_mul_f32_e32 v60, 0x3f575c64, v29
	;; [unrolled: 1-line block ×3, first 2 shown]
	s_delay_alu instid0(VALU_DEP_4) | instskip(SKIP_1) | instid1(VALU_DEP_4)
	v_dual_add_f32 v55, v55, v24 :: v_dual_add_f32 v56, v56, v37
	v_mul_f32_e32 v63, 0xbf7d64f0, v58
	v_fmamk_f32 v67, v28, 0x3f0a6770, v60
	v_fmac_f32_e32 v60, 0xbf0a6770, v28
	s_delay_alu instid0(VALU_DEP_4) | instskip(SKIP_2) | instid1(VALU_DEP_4)
	v_dual_mul_f32 v62, 0x3ed4b147, v29 :: v_dual_add_f32 v55, v55, v20
	v_add_f32_e32 v56, v56, v33
	v_mul_f32_e32 v64, 0xbe11bafb, v29
	v_dual_mul_f32 v65, 0xbf4178ce, v58 :: v_dual_add_f32 v60, v1, v60
	s_delay_alu instid0(VALU_DEP_3) | instskip(SKIP_3) | instid1(VALU_DEP_4)
	v_dual_add_f32 v55, v55, v16 :: v_dual_add_f32 v56, v56, v25
	v_fmamk_f32 v68, v57, 0x3ed4b147, v61
	v_fmamk_f32 v66, v57, 0x3f575c64, v59
	v_fma_f32 v59, 0x3f575c64, v57, -v59
	v_dual_add_f32 v55, v55, v12 :: v_dual_add_f32 v56, v56, v21
	v_add_f32_e32 v67, v1, v67
	s_delay_alu instid0(VALU_DEP_3) | instskip(NEXT) | instid1(VALU_DEP_3)
	v_dual_fmamk_f32 v70, v57, 0xbe11bafb, v63 :: v_dual_add_f32 v59, v0, v59
	v_dual_add_f32 v55, v55, v8 :: v_dual_add_f32 v56, v56, v17
	v_fmamk_f32 v71, v28, 0x3f7d64f0, v64
	v_add_f32_e32 v66, v0, v66
	v_fma_f32 v61, 0x3ed4b147, v57, -v61
	s_delay_alu instid0(VALU_DEP_4)
	v_add_f32_e32 v4, v55, v4
	v_fma_f32 v55, 0xbe11bafb, v57, -v63
	v_mul_f32_e32 v63, 0xbf27a4f4, v29
	v_add_f32_e32 v56, v56, v13
	v_dual_add_f32 v70, v0, v70 :: v_dual_mul_f32 v29, 0xbf75a155, v29
	v_sub_f32_e32 v74, v41, v9
	s_delay_alu instid0(VALU_DEP_4) | instskip(NEXT) | instid1(VALU_DEP_4)
	v_fmamk_f32 v72, v28, 0x3f4178ce, v63
	v_dual_fmac_f32 v63, 0xbf4178ce, v28 :: v_dual_add_f32 v56, v56, v9
	v_add_f32_e32 v9, v9, v41
	v_fmamk_f32 v69, v28, 0x3f68dda4, v62
	s_delay_alu instid0(VALU_DEP_3) | instskip(NEXT) | instid1(VALU_DEP_4)
	v_dual_fmac_f32 v62, 0xbf68dda4, v28 :: v_dual_add_f32 v63, v1, v63
	v_dual_add_f32 v5, v56, v5 :: v_dual_add_f32 v56, v1, v71
	v_fmamk_f32 v71, v57, 0xbf27a4f4, v65
	v_dual_mul_f32 v58, 0xbe903f40, v58 :: v_dual_add_f32 v61, v0, v61
	v_fmac_f32_e32 v64, 0xbf7d64f0, v28
	v_fma_f32 v65, 0xbf27a4f4, v57, -v65
	s_delay_alu instid0(VALU_DEP_4) | instskip(NEXT) | instid1(VALU_DEP_4)
	v_add_f32_e32 v71, v0, v71
	v_dual_add_f32 v68, v0, v68 :: v_dual_fmamk_f32 v73, v57, 0xbf75a155, v58
	v_fmamk_f32 v75, v28, 0x3e903f40, v29
	v_fma_f32 v57, 0xbf75a155, v57, -v58
	v_dual_add_f32 v41, v8, v40 :: v_dual_mul_f32 v58, 0xbf68dda4, v74
	s_delay_alu instid0(VALU_DEP_4)
	v_add_f32_e32 v73, v0, v73
	v_fmac_f32_e32 v29, 0xbe903f40, v28
	v_mul_f32_e32 v28, 0x3ed4b147, v9
	v_sub_f32_e32 v8, v40, v8
	v_add_f32_e32 v62, v1, v62
	v_add_f32_e32 v69, v1, v69
	v_dual_add_f32 v55, v0, v55 :: v_dual_add_f32 v64, v1, v64
	v_dual_add_f32 v72, v1, v72 :: v_dual_add_f32 v65, v0, v65
	v_add_f32_e32 v40, v1, v75
	v_dual_fmamk_f32 v75, v41, 0x3ed4b147, v58 :: v_dual_add_f32 v0, v0, v57
	v_mul_f32_e32 v57, 0xbf4178ce, v74
	v_add_f32_e32 v1, v1, v29
	v_fma_f32 v58, 0x3ed4b147, v41, -v58
	s_delay_alu instid0(VALU_DEP_4) | instskip(SKIP_1) | instid1(VALU_DEP_3)
	v_dual_add_f32 v66, v75, v66 :: v_dual_fmamk_f32 v29, v8, 0x3f68dda4, v28
	v_mul_f32_e32 v76, 0xbf75a155, v9
	v_add_f32_e32 v58, v58, v59
	s_delay_alu instid0(VALU_DEP_3) | instskip(SKIP_2) | instid1(VALU_DEP_3)
	v_dual_fmac_f32 v28, 0xbf68dda4, v8 :: v_dual_add_f32 v29, v29, v67
	v_fmamk_f32 v67, v41, 0xbf27a4f4, v57
	v_mul_f32_e32 v75, 0xbf27a4f4, v9
	v_dual_mul_f32 v59, 0x3e903f40, v74 :: v_dual_add_f32 v28, v28, v60
	v_fma_f32 v57, 0xbf27a4f4, v41, -v57
	s_delay_alu instid0(VALU_DEP_3) | instskip(NEXT) | instid1(VALU_DEP_3)
	v_dual_add_f32 v60, v67, v68 :: v_dual_fmamk_f32 v67, v8, 0x3f4178ce, v75
	v_fmamk_f32 v68, v41, 0xbf75a155, v59
	s_delay_alu instid0(VALU_DEP_3) | instskip(NEXT) | instid1(VALU_DEP_3)
	v_add_f32_e32 v57, v57, v61
	v_add_f32_e32 v67, v67, v69
	v_fmac_f32_e32 v75, 0xbf4178ce, v8
	s_delay_alu instid0(VALU_DEP_1)
	v_add_f32_e32 v61, v75, v62
	v_add_f32_e32 v62, v68, v70
	v_fmamk_f32 v68, v8, 0xbe903f40, v76
	v_mul_f32_e32 v69, 0x3f7d64f0, v74
	v_fmac_f32_e32 v76, 0x3e903f40, v8
	v_fma_f32 v59, 0xbf75a155, v41, -v59
	v_mul_f32_e32 v70, 0xbe11bafb, v9
	v_dual_add_f32 v56, v68, v56 :: v_dual_mul_f32 v9, 0x3f575c64, v9
	s_delay_alu instid0(VALU_DEP_3) | instskip(NEXT) | instid1(VALU_DEP_3)
	v_add_f32_e32 v55, v59, v55
	v_fmamk_f32 v59, v8, 0xbf7d64f0, v70
	v_fmamk_f32 v68, v41, 0xbe11bafb, v69
	v_fma_f32 v69, 0xbe11bafb, v41, -v69
	v_mul_f32_e32 v74, 0x3f0a6770, v74
	v_fmac_f32_e32 v70, 0x3f7d64f0, v8
	s_delay_alu instid0(VALU_DEP_4) | instskip(NEXT) | instid1(VALU_DEP_4)
	v_dual_add_f32 v59, v59, v72 :: v_dual_add_f32 v68, v68, v71
	v_dual_add_f32 v65, v69, v65 :: v_dual_add_f32 v64, v76, v64
	s_delay_alu instid0(VALU_DEP_4) | instskip(SKIP_2) | instid1(VALU_DEP_3)
	v_fmamk_f32 v71, v41, 0x3f575c64, v74
	v_sub_f32_e32 v69, v37, v13
	v_dual_add_f32 v63, v70, v63 :: v_dual_add_f32 v72, v12, v36
	v_add_f32_e32 v70, v71, v73
	s_delay_alu instid0(VALU_DEP_3)
	v_mul_f32_e32 v73, 0xbf7d64f0, v69
	v_add_f32_e32 v13, v13, v37
	v_fma_f32 v37, 0x3f575c64, v41, -v74
	v_fmamk_f32 v71, v8, 0xbf0a6770, v9
	v_fmac_f32_e32 v9, 0x3f0a6770, v8
	v_sub_f32_e32 v8, v36, v12
	v_fmamk_f32 v12, v72, 0xbe11bafb, v73
	v_mul_f32_e32 v36, 0xbe11bafb, v13
	v_fma_f32 v41, 0xbe11bafb, v72, -v73
	v_add_f32_e32 v1, v9, v1
	s_delay_alu instid0(VALU_DEP_4) | instskip(NEXT) | instid1(VALU_DEP_4)
	v_dual_add_f32 v0, v37, v0 :: v_dual_add_f32 v9, v12, v66
	v_fmamk_f32 v12, v8, 0x3f7d64f0, v36
	s_delay_alu instid0(VALU_DEP_4) | instskip(SKIP_1) | instid1(VALU_DEP_3)
	v_dual_fmac_f32 v36, 0xbf7d64f0, v8 :: v_dual_add_f32 v41, v41, v58
	v_dual_mul_f32 v37, 0x3e903f40, v69 :: v_dual_add_f32 v40, v71, v40
	v_add_f32_e32 v12, v12, v29
	s_delay_alu instid0(VALU_DEP_3) | instskip(NEXT) | instid1(VALU_DEP_3)
	v_add_f32_e32 v28, v36, v28
	v_dual_mul_f32 v66, 0xbf75a155, v13 :: v_dual_fmamk_f32 v29, v72, 0xbf75a155, v37
	v_fma_f32 v37, 0xbf75a155, v72, -v37
	v_mul_f32_e32 v71, 0x3f575c64, v13
	s_delay_alu instid0(VALU_DEP_3) | instskip(NEXT) | instid1(VALU_DEP_3)
	v_dual_fmamk_f32 v36, v8, 0xbe903f40, v66 :: v_dual_add_f32 v29, v29, v60
	v_dual_fmac_f32 v66, 0x3e903f40, v8 :: v_dual_add_f32 v37, v37, v57
	s_delay_alu instid0(VALU_DEP_2) | instskip(SKIP_1) | instid1(VALU_DEP_3)
	v_dual_add_f32 v36, v36, v67 :: v_dual_mul_f32 v67, 0x3ed4b147, v13
	v_mul_f32_e32 v58, 0x3f68dda4, v69
	v_add_f32_e32 v57, v66, v61
	v_mul_f32_e32 v13, 0xbf27a4f4, v13
	s_delay_alu instid0(VALU_DEP_3) | instskip(NEXT) | instid1(VALU_DEP_1)
	v_fmamk_f32 v60, v72, 0x3ed4b147, v58
	v_dual_mul_f32 v61, 0xbf0a6770, v69 :: v_dual_add_f32 v60, v60, v62
	v_fmamk_f32 v62, v8, 0xbf68dda4, v67
	v_fmac_f32_e32 v67, 0x3f68dda4, v8
	v_fma_f32 v58, 0x3ed4b147, v72, -v58
	s_delay_alu instid0(VALU_DEP_4) | instskip(SKIP_1) | instid1(VALU_DEP_3)
	v_fmamk_f32 v66, v72, 0x3f575c64, v61
	v_fma_f32 v61, 0x3f575c64, v72, -v61
	v_add_f32_e32 v55, v58, v55
	v_add_f32_e32 v56, v62, v56
	;; [unrolled: 1-line block ×3, first 2 shown]
	v_dual_add_f32 v62, v66, v68 :: v_dual_fmamk_f32 v67, v8, 0x3f4178ce, v13
	v_dual_fmamk_f32 v64, v8, 0x3f0a6770, v71 :: v_dual_add_f32 v61, v61, v65
	v_fmac_f32_e32 v71, 0xbf0a6770, v8
	v_mul_f32_e32 v66, 0xbf4178ce, v69
	v_sub_f32_e32 v65, v33, v17
	s_delay_alu instid0(VALU_DEP_4) | instskip(SKIP_1) | instid1(VALU_DEP_4)
	v_dual_add_f32 v59, v64, v59 :: v_dual_add_f32 v40, v67, v40
	v_add_f32_e32 v17, v17, v33
	v_dual_add_f32 v63, v71, v63 :: v_dual_fmamk_f32 v64, v72, 0xbf27a4f4, v66
	v_add_f32_e32 v67, v16, v32
	v_mul_f32_e32 v33, 0xbf4178ce, v65
	v_fmac_f32_e32 v13, 0xbf4178ce, v8
	v_sub_f32_e32 v8, v32, v16
	v_mul_f32_e32 v16, 0xbf27a4f4, v17
	v_fma_f32 v66, 0xbf27a4f4, v72, -v66
	v_fmamk_f32 v32, v67, 0xbf27a4f4, v33
	v_add_f32_e32 v64, v64, v70
	s_delay_alu instid0(VALU_DEP_2) | instskip(SKIP_3) | instid1(VALU_DEP_3)
	v_dual_add_f32 v0, v66, v0 :: v_dual_add_f32 v9, v32, v9
	v_fma_f32 v32, 0xbf27a4f4, v67, -v33
	v_fmamk_f32 v66, v8, 0x3f4178ce, v16
	v_fmac_f32_e32 v16, 0xbf4178ce, v8
	v_add_f32_e32 v32, v32, v41
	v_add_f32_e32 v1, v13, v1
	s_delay_alu instid0(VALU_DEP_4) | instskip(NEXT) | instid1(VALU_DEP_1)
	v_dual_mul_f32 v13, 0x3f7d64f0, v65 :: v_dual_add_f32 v12, v66, v12
	v_dual_add_f32 v16, v16, v28 :: v_dual_fmamk_f32 v33, v67, 0xbe11bafb, v13
	v_fma_f32 v13, 0xbe11bafb, v67, -v13
	s_delay_alu instid0(VALU_DEP_2) | instskip(SKIP_1) | instid1(VALU_DEP_1)
	v_add_f32_e32 v28, v33, v29
	v_mul_f32_e32 v29, 0xbf0a6770, v65
	v_dual_mul_f32 v41, 0x3f575c64, v17 :: v_dual_fmamk_f32 v68, v67, 0x3f575c64, v29
	v_mul_f32_e32 v66, 0xbe11bafb, v17
	v_fma_f32 v29, 0x3f575c64, v67, -v29
	s_delay_alu instid0(VALU_DEP_2) | instskip(NEXT) | instid1(VALU_DEP_2)
	v_fmamk_f32 v33, v8, 0xbf7d64f0, v66
	v_dual_fmac_f32 v66, 0x3f7d64f0, v8 :: v_dual_add_f32 v29, v29, v55
	s_delay_alu instid0(VALU_DEP_2) | instskip(SKIP_2) | instid1(VALU_DEP_4)
	v_add_f32_e32 v33, v33, v36
	v_dual_add_f32 v36, v13, v37 :: v_dual_fmamk_f32 v13, v8, 0x3f0a6770, v41
	v_fmac_f32_e32 v41, 0xbf0a6770, v8
	v_add_f32_e32 v37, v66, v57
	v_dual_add_f32 v57, v68, v60 :: v_dual_mul_f32 v60, 0xbe903f40, v65
	s_delay_alu instid0(VALU_DEP_4) | instskip(NEXT) | instid1(VALU_DEP_4)
	v_add_f32_e32 v56, v13, v56
	v_add_f32_e32 v41, v41, v58
	v_mul_f32_e32 v13, 0xbf75a155, v17
	v_mul_f32_e32 v17, 0x3ed4b147, v17
	v_fmamk_f32 v66, v67, 0xbf75a155, v60
	v_fma_f32 v60, 0xbf75a155, v67, -v60
	s_delay_alu instid0(VALU_DEP_4) | instskip(SKIP_1) | instid1(VALU_DEP_4)
	v_fmamk_f32 v58, v8, 0x3e903f40, v13
	v_mul_f32_e32 v55, 0x3f68dda4, v65
	v_dual_fmac_f32 v13, 0xbe903f40, v8 :: v_dual_add_f32 v62, v66, v62
	v_sub_f32_e32 v66, v24, v20
	s_delay_alu instid0(VALU_DEP_3) | instskip(SKIP_2) | instid1(VALU_DEP_3)
	v_dual_add_f32 v58, v58, v59 :: v_dual_fmamk_f32 v65, v67, 0x3ed4b147, v55
	v_add_f32_e32 v59, v60, v61
	v_fma_f32 v55, 0x3ed4b147, v67, -v55
	v_add_f32_e32 v61, v65, v64
	v_add_f32_e32 v64, v21, v25
	;; [unrolled: 1-line block ×3, first 2 shown]
	s_delay_alu instid0(VALU_DEP_4) | instskip(SKIP_3) | instid1(VALU_DEP_4)
	v_dual_sub_f32 v63, v25, v21 :: v_dual_add_f32 v0, v55, v0
	v_fmamk_f32 v13, v8, 0xbf68dda4, v17
	v_add_f32_e32 v65, v20, v24
	v_mul_f32_e32 v20, 0xbf75a155, v64
	v_mul_f32_e32 v21, 0xbe903f40, v63
	v_fmac_f32_e32 v17, 0x3f68dda4, v8
	v_add_f32_e32 v67, v13, v40
	v_mul_f32_e32 v25, 0x3f575c64, v64
	v_fmamk_f32 v13, v66, 0x3e903f40, v20
	v_fmac_f32_e32 v20, 0xbe903f40, v66
	v_fmamk_f32 v8, v65, 0xbf75a155, v21
	v_add_f32_e32 v1, v17, v1
	s_delay_alu instid0(VALU_DEP_2) | instskip(SKIP_2) | instid1(VALU_DEP_3)
	v_dual_mul_f32 v17, 0x3f0a6770, v63 :: v_dual_add_f32 v8, v8, v9
	v_fma_f32 v21, 0xbf75a155, v65, -v21
	v_add_f32_e32 v9, v13, v12
	v_dual_fmamk_f32 v24, v65, 0x3f575c64, v17 :: v_dual_add_f32 v13, v20, v16
	v_fmamk_f32 v20, v66, 0xbf0a6770, v25
	s_delay_alu instid0(VALU_DEP_4) | instskip(SKIP_1) | instid1(VALU_DEP_4)
	v_add_f32_e32 v12, v21, v32
	v_mul_f32_e32 v32, 0xbf4178ce, v63
	v_dual_add_f32 v16, v24, v28 :: v_dual_fmac_f32 v25, 0x3f0a6770, v66
	v_mul_f32_e32 v40, 0xbf27a4f4, v64
	s_delay_alu instid0(VALU_DEP_3) | instskip(SKIP_1) | instid1(VALU_DEP_2)
	v_fma_f32 v28, 0xbf27a4f4, v65, -v32
	v_fmamk_f32 v24, v65, 0xbf27a4f4, v32
	v_add_f32_e32 v28, v28, v29
	v_fma_f32 v21, 0x3f575c64, v65, -v17
	v_add_f32_e32 v17, v20, v33
	s_delay_alu instid0(VALU_DEP_4) | instskip(NEXT) | instid1(VALU_DEP_3)
	v_dual_mul_f32 v33, 0x3f68dda4, v63 :: v_dual_add_f32 v24, v24, v57
	v_add_f32_e32 v20, v21, v36
	v_add_f32_e32 v21, v25, v37
	s_delay_alu instid0(VALU_DEP_3) | instskip(SKIP_1) | instid1(VALU_DEP_2)
	v_dual_mul_f32 v37, 0x3ed4b147, v64 :: v_dual_fmamk_f32 v32, v65, 0x3ed4b147, v33
	v_fmamk_f32 v25, v66, 0x3f4178ce, v40
	v_fmamk_f32 v36, v66, 0xbf68dda4, v37
	s_delay_alu instid0(VALU_DEP_3) | instskip(NEXT) | instid1(VALU_DEP_3)
	v_add_f32_e32 v32, v32, v62
	v_dual_fmac_f32 v40, 0xbf4178ce, v66 :: v_dual_add_f32 v25, v25, v56
	s_delay_alu instid0(VALU_DEP_1) | instskip(SKIP_3) | instid1(VALU_DEP_4)
	v_dual_mul_f32 v56, 0xbe11bafb, v64 :: v_dual_add_f32 v29, v40, v41
	v_fma_f32 v40, 0x3ed4b147, v65, -v33
	v_add_f32_e32 v33, v36, v58
	v_mul_f32_e32 v41, 0xbf7d64f0, v63
	v_fmamk_f32 v55, v66, 0x3f7d64f0, v56
	v_fmac_f32_e32 v56, 0xbf7d64f0, v66
	v_dual_add_f32 v36, v40, v59 :: v_dual_fmac_f32 v37, 0x3f68dda4, v66
	s_delay_alu instid0(VALU_DEP_4) | instskip(NEXT) | instid1(VALU_DEP_4)
	v_fma_f32 v57, 0xbe11bafb, v65, -v41
	v_dual_fmamk_f32 v40, v65, 0xbe11bafb, v41 :: v_dual_add_f32 v41, v55, v67
	s_delay_alu instid0(VALU_DEP_3) | instskip(NEXT) | instid1(VALU_DEP_3)
	v_dual_add_f32 v56, v56, v1 :: v_dual_add_f32 v37, v37, v60
	v_add_f32_e32 v55, v57, v0
	v_mad_u32_u24 v0, 0x50, v48, v49
	s_delay_alu instid0(VALU_DEP_4)
	v_add_f32_e32 v40, v40, v61
	ds_store_2addr_b64 v0, v[4:5], v[8:9] offset1:1
	ds_store_2addr_b64 v0, v[16:17], v[24:25] offset0:2 offset1:3
	ds_store_2addr_b64 v0, v[32:33], v[40:41] offset0:4 offset1:5
	;; [unrolled: 1-line block ×4, first 2 shown]
	ds_store_b64 v0, v[12:13] offset:80
	v_cmpx_gt_u32_e32 20, v48
	s_cbranch_execz .LBB0_15
; %bb.14:
	v_dual_add_f32 v1, v7, v31 :: v_dual_sub_f32 v24, v30, v6
	v_dual_add_f32 v16, v11, v43 :: v_dual_sub_f32 v25, v42, v10
	s_delay_alu instid0(VALU_DEP_2) | instskip(SKIP_1) | instid1(VALU_DEP_3)
	v_dual_add_f32 v20, v15, v39 :: v_dual_mul_f32 v21, 0xbf75a155, v1
	v_dual_sub_f32 v28, v38, v14 :: v_dual_add_f32 v29, v19, v35
	v_dual_sub_f32 v32, v34, v18 :: v_dual_mul_f32 v33, 0x3f575c64, v16
	s_delay_alu instid0(VALU_DEP_3) | instskip(SKIP_2) | instid1(VALU_DEP_3)
	v_dual_fmamk_f32 v4, v24, 0x3e903f40, v21 :: v_dual_sub_f32 v37, v31, v7
	v_add_f32_e32 v36, v6, v30
	v_dual_mul_f32 v40, 0xbf27a4f4, v20 :: v_dual_sub_f32 v41, v43, v11
	v_dual_fmamk_f32 v5, v25, 0xbf0a6770, v33 :: v_dual_add_f32 v4, v3, v4
	v_mul_f32_e32 v55, 0x3ed4b147, v29
	v_dual_mul_f32 v56, 0xbe903f40, v37 :: v_dual_add_f32 v57, v10, v42
	s_delay_alu instid0(VALU_DEP_4) | instskip(NEXT) | instid1(VALU_DEP_2)
	v_dual_fmamk_f32 v8, v28, 0x3f4178ce, v40 :: v_dual_sub_f32 v59, v39, v15
	v_dual_add_f32 v4, v5, v4 :: v_dual_fmamk_f32 v5, v36, 0xbf75a155, v56
	v_dual_mul_f32 v58, 0x3f0a6770, v41 :: v_dual_add_f32 v61, v14, v38
	v_dual_fmamk_f32 v9, v32, 0xbf68dda4, v55 :: v_dual_add_f32 v60, v23, v27
	s_delay_alu instid0(VALU_DEP_3) | instskip(NEXT) | instid1(VALU_DEP_3)
	v_dual_add_f32 v4, v8, v4 :: v_dual_add_f32 v5, v2, v5
	v_dual_fmamk_f32 v8, v57, 0x3f575c64, v58 :: v_dual_sub_f32 v65, v26, v22
	v_mul_f32_e32 v62, 0xbf4178ce, v59
	s_delay_alu instid0(VALU_DEP_4) | instskip(NEXT) | instid1(VALU_DEP_3)
	v_dual_mul_f32 v63, 0xbe11bafb, v60 :: v_dual_sub_f32 v64, v35, v19
	v_dual_add_f32 v5, v8, v5 :: v_dual_add_f32 v66, v18, v34
	s_delay_alu instid0(VALU_DEP_3) | instskip(NEXT) | instid1(VALU_DEP_3)
	v_dual_fmamk_f32 v8, v61, 0xbf27a4f4, v62 :: v_dual_sub_f32 v69, v27, v23
	v_mul_f32_e32 v67, 0x3f68dda4, v64
	v_dual_add_f32 v4, v9, v4 :: v_dual_add_f32 v71, v22, v26
	s_delay_alu instid0(VALU_DEP_3) | instskip(NEXT) | instid1(VALU_DEP_3)
	v_dual_fmamk_f32 v9, v65, 0x3f7d64f0, v63 :: v_dual_add_f32 v8, v8, v5
	v_fmamk_f32 v12, v66, 0x3ed4b147, v67
	v_mul_f32_e32 v73, 0xbf4178ce, v37
	s_delay_alu instid0(VALU_DEP_3) | instskip(SKIP_1) | instid1(VALU_DEP_4)
	v_dual_mul_f32 v68, 0xbf27a4f4, v1 :: v_dual_add_f32 v5, v9, v4
	v_mul_f32_e32 v78, 0x3ed4b147, v60
	v_add_f32_e32 v4, v12, v8
	s_delay_alu instid0(VALU_DEP_4) | instskip(NEXT) | instid1(VALU_DEP_4)
	v_fmamk_f32 v13, v36, 0xbf27a4f4, v73
	v_fmamk_f32 v8, v24, 0x3f4178ce, v68
	v_mul_f32_e32 v75, 0x3f7d64f0, v41
	v_mul_f32_e32 v70, 0xbe11bafb, v16
	s_delay_alu instid0(VALU_DEP_4) | instskip(NEXT) | instid1(VALU_DEP_3)
	v_dual_mul_f32 v90, 0xbf75a155, v20 :: v_dual_add_f32 v13, v2, v13
	v_dual_add_f32 v8, v3, v8 :: v_dual_fmamk_f32 v17, v57, 0xbe11bafb, v75
	s_delay_alu instid0(VALU_DEP_3) | instskip(SKIP_2) | instid1(VALU_DEP_3)
	v_dual_mul_f32 v72, 0xbf7d64f0, v69 :: v_dual_fmamk_f32 v9, v25, 0xbf7d64f0, v70
	v_mul_f32_e32 v74, 0x3f575c64, v20
	v_mul_f32_e32 v93, 0xbe11bafb, v20
	v_dual_add_f32 v13, v17, v13 :: v_dual_fmamk_f32 v12, v71, 0xbe11bafb, v72
	s_delay_alu instid0(VALU_DEP_3) | instskip(SKIP_2) | instid1(VALU_DEP_4)
	v_dual_add_f32 v8, v9, v8 :: v_dual_fmamk_f32 v9, v28, 0x3f0a6770, v74
	v_mul_f32_e32 v77, 0xbf0a6770, v59
	v_mul_f32_e32 v92, 0x3f7d64f0, v64
	v_add_f32_e32 v4, v12, v4
	v_fmac_f32_e32 v21, 0xbe903f40, v24
	v_add_f32_e32 v8, v9, v8
	v_fmamk_f32 v17, v61, 0x3f575c64, v77
	v_mul_f32_e32 v79, 0xbe903f40, v64
	v_fmac_f32_e32 v33, 0x3f0a6770, v25
	v_fmac_f32_e32 v40, 0xbf4178ce, v28
	v_add_f32_e32 v30, v2, v30
	v_add_f32_e32 v12, v17, v13
	v_dual_mul_f32 v76, 0xbf75a155, v29 :: v_dual_fmamk_f32 v13, v66, 0xbf75a155, v79
	v_add_f32_e32 v17, v3, v31
	s_delay_alu instid0(VALU_DEP_4) | instskip(NEXT) | instid1(VALU_DEP_3)
	v_dual_mul_f32 v31, 0x3f68dda4, v69 :: v_dual_add_f32 v30, v30, v42
	v_fmamk_f32 v9, v32, 0x3e903f40, v76
	v_add_f32_e32 v21, v3, v21
	s_delay_alu instid0(VALU_DEP_4) | instskip(NEXT) | instid1(VALU_DEP_4)
	v_dual_add_f32 v17, v17, v43 :: v_dual_fmac_f32 v68, 0xbf4178ce, v24
	v_add_f32_e32 v30, v30, v38
	s_delay_alu instid0(VALU_DEP_4) | instskip(SKIP_1) | instid1(VALU_DEP_4)
	v_add_f32_e32 v8, v9, v8
	v_fmamk_f32 v9, v65, 0xbf68dda4, v78
	v_dual_mul_f32 v80, 0xbe11bafb, v1 :: v_dual_add_f32 v17, v17, v39
	v_add_f32_e32 v21, v33, v21
	v_fmac_f32_e32 v63, 0xbf7d64f0, v65
	s_delay_alu instid0(VALU_DEP_4) | instskip(NEXT) | instid1(VALU_DEP_4)
	v_add_f32_e32 v9, v9, v8
	v_dual_fmamk_f32 v81, v24, 0x3f7d64f0, v80 :: v_dual_add_f32 v8, v13, v12
	v_mul_f32_e32 v82, 0xbf75a155, v16
	v_fmamk_f32 v13, v71, 0x3ed4b147, v31
	v_fma_f32 v33, 0xbf75a155, v66, -v79
	s_delay_alu instid0(VALU_DEP_4)
	v_add_f32_e32 v43, v3, v81
	v_fma_f32 v31, 0x3ed4b147, v71, -v31
	v_fmamk_f32 v81, v25, 0xbe903f40, v82
	v_mul_f32_e32 v42, 0xbf7d64f0, v37
	v_add_f32_e32 v8, v13, v8
	v_fmac_f32_e32 v82, 0x3e903f40, v25
	s_delay_alu instid0(VALU_DEP_4) | instskip(NEXT) | instid1(VALU_DEP_4)
	v_dual_fmac_f32 v76, 0xbe903f40, v32 :: v_dual_add_f32 v43, v81, v43
	v_fmamk_f32 v12, v36, 0xbe11bafb, v42
	v_mul_f32_e32 v81, 0x3e903f40, v41
	v_mul_f32_e32 v83, 0x3ed4b147, v20
	s_delay_alu instid0(VALU_DEP_3) | instskip(NEXT) | instid1(VALU_DEP_3)
	v_add_f32_e32 v12, v2, v12
	v_fmamk_f32 v38, v57, 0xbf75a155, v81
	v_mul_f32_e32 v39, 0x3f68dda4, v59
	s_delay_alu instid0(VALU_DEP_4) | instskip(NEXT) | instid1(VALU_DEP_2)
	v_fmamk_f32 v84, v28, 0xbf68dda4, v83
	v_dual_add_f32 v12, v38, v12 :: v_dual_fmamk_f32 v13, v61, 0x3ed4b147, v39
	s_delay_alu instid0(VALU_DEP_1) | instskip(SKIP_1) | instid1(VALU_DEP_4)
	v_dual_mul_f32 v85, 0x3f575c64, v29 :: v_dual_add_f32 v12, v13, v12
	v_add_f32_e32 v13, v17, v35
	v_add_f32_e32 v38, v84, v43
	s_delay_alu instid0(VALU_DEP_3) | instskip(SKIP_1) | instid1(VALU_DEP_4)
	v_fmamk_f32 v43, v32, 0x3f0a6770, v85
	v_mul_f32_e32 v84, 0xbf27a4f4, v60
	v_dual_mul_f32 v86, 0xbf0a6770, v64 :: v_dual_add_f32 v27, v13, v27
	v_add_f32_e32 v17, v30, v34
	s_delay_alu instid0(VALU_DEP_4) | instskip(NEXT) | instid1(VALU_DEP_4)
	v_add_f32_e32 v35, v43, v38
	v_fmamk_f32 v43, v65, 0x3f4178ce, v84
	s_delay_alu instid0(VALU_DEP_4) | instskip(NEXT) | instid1(VALU_DEP_4)
	v_fmamk_f32 v30, v66, 0x3f575c64, v86
	v_dual_mul_f32 v34, 0xbf4178ce, v69 :: v_dual_add_f32 v17, v17, v26
	s_delay_alu instid0(VALU_DEP_3) | instskip(NEXT) | instid1(VALU_DEP_3)
	v_dual_mul_f32 v88, 0xbf27a4f4, v16 :: v_dual_add_f32 v13, v43, v35
	v_dual_mul_f32 v43, 0xbf4178ce, v41 :: v_dual_add_f32 v12, v30, v12
	s_delay_alu instid0(VALU_DEP_3) | instskip(SKIP_2) | instid1(VALU_DEP_4)
	v_add_f32_e32 v17, v17, v22
	v_add_f32_e32 v23, v27, v23
	v_mul_f32_e32 v27, 0x3e903f40, v59
	v_fmamk_f32 v22, v57, 0xbf27a4f4, v43
	v_fmamk_f32 v89, v25, 0x3f4178ce, v88
	;; [unrolled: 1-line block ×3, first 2 shown]
	v_mul_f32_e32 v87, 0x3ed4b147, v1
	v_dual_add_f32 v19, v23, v19 :: v_dual_add_f32 v18, v17, v18
	v_mul_f32_e32 v64, 0xbf4178ce, v64
	s_delay_alu instid0(VALU_DEP_4) | instskip(NEXT) | instid1(VALU_DEP_3)
	v_add_f32_e32 v12, v30, v12
	v_dual_fmamk_f32 v38, v24, 0x3f68dda4, v87 :: v_dual_add_f32 v19, v19, v15
	s_delay_alu instid0(VALU_DEP_4) | instskip(SKIP_1) | instid1(VALU_DEP_3)
	v_dual_add_f32 v18, v18, v14 :: v_dual_fmac_f32 v85, 0xbf0a6770, v32
	v_fmac_f32_e32 v80, 0xbf7d64f0, v24
	v_add_f32_e32 v38, v3, v38
	v_fmac_f32_e32 v88, 0xbf4178ce, v25
	s_delay_alu instid0(VALU_DEP_4) | instskip(NEXT) | instid1(VALU_DEP_3)
	v_dual_add_f32 v10, v18, v10 :: v_dual_add_f32 v11, v19, v11
	v_dual_add_f32 v18, v40, v21 :: v_dual_add_f32 v35, v89, v38
	v_fmamk_f32 v38, v28, 0xbe903f40, v90
	v_mul_f32_e32 v26, 0xbf68dda4, v37
	v_mul_f32_e32 v89, 0xbe11bafb, v29
	v_fma_f32 v19, 0x3f575c64, v57, -v58
	v_fmac_f32_e32 v55, 0x3f68dda4, v32
	s_delay_alu instid0(VALU_DEP_4) | instskip(SKIP_3) | instid1(VALU_DEP_4)
	v_dual_add_f32 v35, v38, v35 :: v_dual_fmamk_f32 v30, v36, 0x3ed4b147, v26
	v_dual_add_f32 v6, v10, v6 :: v_dual_add_f32 v7, v11, v7
	v_fma_f32 v11, 0xbf75a155, v36, -v56
	v_fma_f32 v21, 0xbe11bafb, v57, -v75
	v_add_f32_e32 v30, v2, v30
	v_fma_f32 v34, 0xbf27a4f4, v71, -v34
	v_fma_f32 v26, 0x3ed4b147, v36, -v26
	v_add_f32_e32 v10, v55, v18
	v_fmac_f32_e32 v70, 0x3f7d64f0, v25
	v_add_f32_e32 v22, v22, v30
	v_fmamk_f32 v30, v61, 0xbf75a155, v27
	v_dual_add_f32 v18, v2, v11 :: v_dual_fmac_f32 v87, 0xbf68dda4, v24
	s_delay_alu instid0(VALU_DEP_2) | instskip(SKIP_2) | instid1(VALU_DEP_4)
	v_dual_fmac_f32 v83, 0x3f68dda4, v28 :: v_dual_add_f32 v22, v30, v22
	v_fmamk_f32 v30, v66, 0xbe11bafb, v92
	v_fmamk_f32 v38, v32, 0xbf7d64f0, v89
	v_dual_mul_f32 v91, 0x3f575c64, v60 :: v_dual_add_f32 v18, v19, v18
	v_fma_f32 v19, 0xbf27a4f4, v61, -v62
	v_fmac_f32_e32 v89, 0x3f7d64f0, v32
	s_delay_alu instid0(VALU_DEP_3) | instskip(NEXT) | instid1(VALU_DEP_1)
	v_dual_add_f32 v35, v38, v35 :: v_dual_fmamk_f32 v38, v65, 0xbf0a6770, v91
	v_dual_fmac_f32 v90, 0x3e903f40, v28 :: v_dual_add_f32 v17, v38, v35
	v_mul_f32_e32 v38, 0x3ed4b147, v16
	v_dual_add_f32 v16, v30, v22 :: v_dual_mul_f32 v23, 0x3f0a6770, v69
	v_mul_f32_e32 v1, 0x3f575c64, v1
	v_mul_f32_e32 v30, 0xbf0a6770, v37
	v_fmac_f32_e32 v91, 0x3f0a6770, v65
	s_delay_alu instid0(VALU_DEP_4) | instskip(NEXT) | instid1(VALU_DEP_3)
	v_fmamk_f32 v22, v71, 0x3f575c64, v23
	v_fmamk_f32 v20, v36, 0x3f575c64, v30
	;; [unrolled: 1-line block ×3, first 2 shown]
	v_fmac_f32_e32 v1, 0xbf0a6770, v24
	s_delay_alu instid0(VALU_DEP_4) | instskip(SKIP_1) | instid1(VALU_DEP_4)
	v_add_f32_e32 v16, v22, v16
	v_mul_f32_e32 v22, 0xbf68dda4, v41
	v_dual_add_f32 v20, v2, v20 :: v_dual_add_f32 v35, v3, v35
	s_delay_alu instid0(VALU_DEP_4) | instskip(SKIP_1) | instid1(VALU_DEP_4)
	v_add_f32_e32 v1, v3, v1
	v_fma_f32 v23, 0x3f575c64, v71, -v23
	v_fmamk_f32 v41, v57, 0x3ed4b147, v22
	v_fmamk_f32 v37, v25, 0x3f68dda4, v38
	v_mul_f32_e32 v29, 0xbf27a4f4, v29
	v_fmac_f32_e32 v38, 0xbf68dda4, v25
	s_delay_alu instid0(VALU_DEP_4) | instskip(NEXT) | instid1(VALU_DEP_4)
	v_dual_add_f32 v20, v41, v20 :: v_dual_mul_f32 v59, 0xbf7d64f0, v59
	v_add_f32_e32 v35, v37, v35
	v_fmamk_f32 v37, v28, 0x3f7d64f0, v93
	v_fmac_f32_e32 v84, 0xbf4178ce, v65
	v_fmac_f32_e32 v93, 0xbf7d64f0, v28
	v_fmamk_f32 v41, v61, 0xbe11bafb, v59
	s_delay_alu instid0(VALU_DEP_4) | instskip(SKIP_2) | instid1(VALU_DEP_4)
	v_add_f32_e32 v35, v37, v35
	v_fma_f32 v24, 0x3f575c64, v36, -v30
	v_fma_f32 v30, 0xbf27a4f4, v57, -v43
	v_dual_add_f32 v20, v41, v20 :: v_dual_fmamk_f32 v41, v66, 0xbf27a4f4, v64
	v_fmamk_f32 v37, v32, 0x3f4178ce, v29
	v_fmac_f32_e32 v29, 0xbf4178ce, v32
	s_delay_alu instid0(VALU_DEP_3) | instskip(NEXT) | instid1(VALU_DEP_3)
	v_add_f32_e32 v20, v41, v20
	v_add_f32_e32 v35, v37, v35
	v_mul_f32_e32 v37, 0xbf75a155, v60
	v_mul_f32_e32 v60, 0xbe903f40, v69
	s_delay_alu instid0(VALU_DEP_2) | instskip(NEXT) | instid1(VALU_DEP_2)
	v_fmamk_f32 v69, v65, 0x3e903f40, v37
	v_fmamk_f32 v41, v71, 0xbf75a155, v60
	v_fmac_f32_e32 v37, 0xbe903f40, v65
	v_fma_f32 v25, 0xbf75a155, v71, -v60
	s_delay_alu instid0(VALU_DEP_4) | instskip(NEXT) | instid1(VALU_DEP_4)
	v_add_f32_e32 v15, v69, v35
	v_add_f32_e32 v14, v41, v20
	v_add_f32_e32 v20, v3, v68
	v_add_f32_e32 v11, v63, v10
	v_fma_f32 v10, 0xbf27a4f4, v36, -v73
	v_dual_add_f32 v35, v3, v87 :: v_dual_fmac_f32 v78, 0x3f68dda4, v65
	s_delay_alu instid0(VALU_DEP_4) | instskip(NEXT) | instid1(VALU_DEP_2)
	v_add_f32_e32 v20, v70, v20
	v_dual_add_f32 v10, v2, v10 :: v_dual_add_f32 v35, v88, v35
	s_delay_alu instid0(VALU_DEP_1) | instskip(SKIP_1) | instid1(VALU_DEP_3)
	v_add_f32_e32 v10, v21, v10
	v_fma_f32 v21, 0x3f575c64, v61, -v77
	v_dual_fmac_f32 v74, 0xbf0a6770, v28 :: v_dual_add_f32 v35, v90, v35
	s_delay_alu instid0(VALU_DEP_1) | instskip(NEXT) | instid1(VALU_DEP_1)
	v_dual_add_f32 v21, v21, v10 :: v_dual_add_f32 v20, v74, v20
	v_add_f32_e32 v20, v76, v20
	v_add_f32_e32 v18, v19, v18
	v_fma_f32 v19, 0x3ed4b147, v66, -v67
	s_delay_alu instid0(VALU_DEP_1) | instskip(SKIP_1) | instid1(VALU_DEP_1)
	v_add_f32_e32 v18, v19, v18
	v_fma_f32 v19, 0xbe11bafb, v71, -v72
	v_add_f32_e32 v10, v19, v18
	v_fma_f32 v18, 0xbe11bafb, v36, -v42
	v_dual_add_f32 v19, v78, v20 :: v_dual_add_f32 v20, v33, v21
	v_fma_f32 v33, 0xbf75a155, v57, -v81
	s_delay_alu instid0(VALU_DEP_3)
	v_dual_add_f32 v21, v3, v80 :: v_dual_add_f32 v18, v2, v18
	v_fma_f32 v3, 0x3ed4b147, v57, -v22
	v_add_f32_e32 v1, v38, v1
	v_add_f32_e32 v26, v2, v26
	;; [unrolled: 1-line block ×4, first 2 shown]
	v_fma_f32 v33, 0x3ed4b147, v61, -v39
	v_fma_f32 v24, 0xbf75a155, v61, -v27
	s_delay_alu instid0(VALU_DEP_4) | instskip(NEXT) | instid1(VALU_DEP_3)
	v_dual_add_f32 v2, v3, v2 :: v_dual_add_f32 v1, v93, v1
	v_add_f32_e32 v18, v33, v18
	v_fma_f32 v33, 0x3f575c64, v66, -v86
	v_add_f32_e32 v22, v30, v26
	v_fma_f32 v3, 0xbe11bafb, v61, -v59
	v_mad_i32_i24 v26, 0x58, v51, 0
	s_delay_alu instid0(VALU_DEP_4) | instskip(NEXT) | instid1(VALU_DEP_4)
	v_dual_add_f32 v33, v33, v18 :: v_dual_add_f32 v18, v31, v20
	v_dual_add_f32 v21, v82, v21 :: v_dual_add_f32 v22, v24, v22
	v_fma_f32 v24, 0xbe11bafb, v66, -v92
	s_delay_alu instid0(VALU_DEP_3) | instskip(SKIP_1) | instid1(VALU_DEP_4)
	v_add_f32_e32 v20, v34, v33
	v_add_f32_e32 v2, v3, v2
	;; [unrolled: 1-line block ×3, first 2 shown]
	v_fma_f32 v3, 0xbf27a4f4, v66, -v64
	v_dual_add_f32 v31, v89, v35 :: v_dual_add_f32 v22, v24, v22
	v_add_f32_e32 v24, v29, v1
	s_delay_alu instid0(VALU_DEP_4) | instskip(NEXT) | instid1(VALU_DEP_4)
	v_add_f32_e32 v21, v85, v21
	v_add_f32_e32 v3, v3, v2
	s_delay_alu instid0(VALU_DEP_4) | instskip(SKIP_2) | instid1(VALU_DEP_4)
	v_add_f32_e32 v2, v91, v31
	v_add_f32_e32 v1, v23, v22
	;; [unrolled: 1-line block ×3, first 2 shown]
	v_dual_add_f32 v21, v84, v21 :: v_dual_add_f32 v22, v25, v3
	ds_store_2addr_b64 v26, v[6:7], v[14:15] offset1:1
	ds_store_2addr_b64 v26, v[16:17], v[12:13] offset0:2 offset1:3
	ds_store_2addr_b64 v26, v[8:9], v[4:5] offset0:4 offset1:5
	;; [unrolled: 1-line block ×4, first 2 shown]
	ds_store_b64 v26, v[22:23] offset:80
.LBB0_15:
	s_wait_alu 0xfffe
	s_or_b32 exec_lo, exec_lo, s1
	v_and_b32_e32 v1, 0xff, v48
	v_and_b32_e32 v2, 0xff, v51
	v_add_nc_u32_e32 v5, 0x6e, v48
	global_wb scope:SCOPE_SE
	s_wait_dscnt 0x0
	s_barrier_signal -1
	v_mul_lo_u16 v1, 0x75, v1
	v_mul_lo_u16 v2, 0x75, v2
	v_and_b32_e32 v42, 0xff, v5
	s_barrier_wait -1
	global_inv scope:SCOPE_SE
	v_lshrrev_b16 v1, 8, v1
	v_lshrrev_b16 v2, 8, v2
	v_mul_lo_u16 v77, 0x95, v42
	s_delay_alu instid0(VALU_DEP_3) | instskip(NEXT) | instid1(VALU_DEP_3)
	v_sub_nc_u16 v3, v48, v1
	v_sub_nc_u16 v4, v51, v2
	s_delay_alu instid0(VALU_DEP_2) | instskip(NEXT) | instid1(VALU_DEP_2)
	v_lshrrev_b16 v3, 1, v3
	v_lshrrev_b16 v4, 1, v4
	s_delay_alu instid0(VALU_DEP_2) | instskip(NEXT) | instid1(VALU_DEP_1)
	v_and_b32_e32 v3, 0x7f, v3
	v_add_nc_u16 v1, v3, v1
	s_delay_alu instid0(VALU_DEP_3) | instskip(NEXT) | instid1(VALU_DEP_2)
	v_and_b32_e32 v3, 0x7f, v4
	v_lshrrev_b16 v43, 3, v1
	v_mul_lo_u16 v1, 0x75, v42
	s_delay_alu instid0(VALU_DEP_3) | instskip(NEXT) | instid1(VALU_DEP_3)
	v_add_nc_u16 v2, v3, v2
	v_mul_lo_u16 v3, v43, 11
	s_delay_alu instid0(VALU_DEP_3) | instskip(NEXT) | instid1(VALU_DEP_3)
	v_lshrrev_b16 v1, 8, v1
	v_lshrrev_b16 v71, 3, v2
	s_delay_alu instid0(VALU_DEP_3) | instskip(NEXT) | instid1(VALU_DEP_3)
	v_sub_nc_u16 v2, v48, v3
	v_sub_nc_u16 v3, v5, v1
	s_delay_alu instid0(VALU_DEP_3) | instskip(NEXT) | instid1(VALU_DEP_3)
	v_mul_lo_u16 v4, v71, 11
	v_and_b32_e32 v73, 0xff, v2
	s_delay_alu instid0(VALU_DEP_3) | instskip(NEXT) | instid1(VALU_DEP_3)
	v_lshrrev_b16 v2, 1, v3
	v_sub_nc_u16 v3, v51, v4
	s_delay_alu instid0(VALU_DEP_3)
	v_lshlrev_b32_e32 v4, 5, v73
	s_clause 0x1
	global_load_b128 v[6:9], v4, s[8:9]
	global_load_b128 v[10:13], v4, s[8:9] offset:16
	v_and_b32_e32 v2, 0x7f, v2
	v_and_b32_e32 v74, 0xff, v3
	v_lshl_add_u32 v3, v51, 3, 0
	s_delay_alu instid0(VALU_DEP_3) | instskip(NEXT) | instid1(VALU_DEP_3)
	v_add_nc_u16 v1, v2, v1
	v_lshlrev_b32_e32 v2, 5, v74
	s_clause 0x1
	global_load_b128 v[14:17], v2, s[8:9]
	global_load_b128 v[18:21], v2, s[8:9] offset:16
	v_lshrrev_b16 v75, 3, v1
	v_mad_i32_i24 v2, 0xffffffb0, v48, v0
	s_delay_alu instid0(VALU_DEP_2) | instskip(NEXT) | instid1(VALU_DEP_1)
	v_mul_lo_u16 v1, v75, 11
	v_sub_nc_u16 v1, v5, v1
	s_delay_alu instid0(VALU_DEP_1) | instskip(NEXT) | instid1(VALU_DEP_1)
	v_and_b32_e32 v76, 0xff, v1
	v_lshlrev_b32_e32 v1, 5, v76
	s_clause 0x1
	global_load_b128 v[22:25], v1, s[8:9]
	global_load_b128 v[26:29], v1, s[8:9] offset:16
	ds_load_2addr_b64 v[30:33], v49 offset1:220
	v_add_nc_u32_e32 v4, 0xc00, v49
	ds_load_2addr_b64 v[34:37], v52 offset0:19 offset1:74
	ds_load_2addr_b64 v[38:41], v53 offset0:93 offset1:148
	;; [unrolled: 1-line block ×4, first 2 shown]
	v_dual_mov_b32 v1, 0 :: v_dual_lshlrev_b32 v0, 2, v48
	v_and_b32_e32 v78, 0xffff, v43
	s_wait_loadcnt_dscnt 0x304
	v_mul_f32_e32 v80, v33, v15
	v_mul_f32_e32 v15, v32, v15
	ds_load_2addr_b64 v[63:66], v2 offset0:110 offset1:165
	ds_load_2addr_b64 v[67:70], v4 offset0:111 offset1:166
	v_and_b32_e32 v79, 0xffff, v71
	s_wait_dscnt 0x3
	v_mul_f32_e32 v81, v56, v17
	v_fmac_f32_e32 v80, v32, v14
	v_lshlrev_b64_e32 v[71:72], 3, v[0:1]
	v_lshrrev_b16 v0, 13, v77
	v_mul_f32_e32 v17, v55, v17
	v_mul_u32_u24_e32 v77, 0x1b8, v78
	v_mul_u32_u24_e32 v78, 0x1b8, v79
	v_mul_f32_e32 v79, v13, v41
	v_mul_f32_e32 v13, v13, v40
	s_wait_loadcnt_dscnt 0x202
	v_dual_mul_f32 v83, v60, v21 :: v_dual_lshlrev_b32 v76, 3, v76
	ds_load_b64 v[42:43], v3
	v_fmac_f32_e32 v79, v12, v40
	v_fmac_f32_e32 v81, v55, v16
	v_add_co_u32 v71, s0, s8, v71
	v_fmac_f32_e32 v83, v59, v20
	s_wait_alu 0xf1ff
	v_add_co_ci_u32_e64 v72, s0, s9, v72, s0
	s_wait_dscnt 0x1
	v_mul_f32_e32 v82, v70, v19
	v_and_b32_e32 v75, 0xffff, v75
	global_wb scope:SCOPE_SE
	s_wait_loadcnt_dscnt 0x0
	s_barrier_signal -1
	v_mul_f32_e32 v40, v62, v29
	v_fmac_f32_e32 v82, v69, v18
	v_mul_u32_u24_e32 v75, 0x1b8, v75
	s_barrier_wait -1
	global_inv scope:SCOPE_SE
	v_mul_lo_u16 v0, v0, 55
	v_mul_f32_e32 v19, v69, v19
	v_add3_u32 v75, 0, v75, v76
	v_mul_f32_e32 v76, v7, v66
	v_mul_f32_e32 v7, v7, v65
	v_sub_nc_u16 v0, v5, v0
	v_fmac_f32_e32 v40, v61, v28
	s_delay_alu instid0(VALU_DEP_4) | instskip(SKIP_2) | instid1(VALU_DEP_2)
	v_fmac_f32_e32 v76, v6, v65
	v_lshlrev_b32_e32 v73, 3, v73
	v_fma_f32 v6, v6, v66, -v7
	v_add3_u32 v73, 0, v77, v73
	v_dual_mul_f32 v77, v9, v37 :: v_dual_lshlrev_b32 v74, 3, v74
	v_mul_f32_e32 v9, v9, v36
	s_delay_alu instid0(VALU_DEP_2) | instskip(NEXT) | instid1(VALU_DEP_3)
	v_fmac_f32_e32 v77, v8, v36
	v_add3_u32 v74, 0, v78, v74
	v_mul_f32_e32 v78, v11, v68
	v_mul_f32_e32 v11, v11, v67
	v_fma_f32 v7, v8, v37, -v9
	v_fma_f32 v37, v12, v41, -v13
	v_mul_f32_e32 v12, v35, v23
	v_dual_mul_f32 v21, v59, v21 :: v_dual_fmac_f32 v78, v10, v67
	v_fma_f32 v36, v10, v68, -v11
	v_fma_f32 v8, v33, v14, -v15
	s_delay_alu instid0(VALU_DEP_4)
	v_fmac_f32_e32 v12, v34, v22
	v_fma_f32 v11, v56, v16, -v17
	v_fma_f32 v17, v70, v18, -v19
	v_fma_f32 v32, v60, v20, -v21
	v_mul_f32_e32 v20, v58, v25
	v_dual_mul_f32 v9, v34, v23 :: v_dual_mul_f32 v10, v57, v25
	v_mul_f32_e32 v33, v39, v27
	v_dual_mul_f32 v13, v38, v27 :: v_dual_mul_f32 v14, v61, v29
	s_delay_alu instid0(VALU_DEP_4) | instskip(NEXT) | instid1(VALU_DEP_4)
	v_fmac_f32_e32 v20, v57, v24
	v_fma_f32 v15, v35, v22, -v9
	v_fma_f32 v21, v58, v24, -v10
	v_add_f32_e32 v10, v77, v78
	v_dual_fmac_f32 v33, v38, v26 :: v_dual_sub_f32 v24, v7, v36
	v_fma_f32 v27, v39, v26, -v13
	v_fma_f32 v34, v62, v28, -v14
	v_dual_add_f32 v9, v30, v76 :: v_dual_sub_f32 v14, v79, v78
	v_dual_sub_f32 v23, v6, v37 :: v_dual_add_f32 v16, v76, v79
	v_dual_sub_f32 v13, v76, v77 :: v_dual_sub_f32 v18, v77, v76
	v_dual_sub_f32 v19, v78, v79 :: v_dual_add_f32 v22, v31, v6
	v_dual_add_f32 v25, v7, v36 :: v_dual_sub_f32 v26, v76, v79
	v_dual_sub_f32 v28, v77, v78 :: v_dual_sub_f32 v29, v6, v7
	v_dual_sub_f32 v35, v37, v36 :: v_dual_add_f32 v38, v6, v37
	v_dual_sub_f32 v39, v7, v6 :: v_dual_sub_f32 v62, v81, v80
	v_dual_sub_f32 v41, v36, v37 :: v_dual_add_f32 v56, v81, v82
	v_dual_add_f32 v55, v42, v80 :: v_dual_sub_f32 v58, v11, v17
	v_dual_sub_f32 v57, v8, v32 :: v_dual_sub_f32 v60, v83, v82
	v_dual_sub_f32 v59, v80, v81 :: v_dual_add_f32 v66, v43, v8
	v_dual_add_f32 v61, v80, v83 :: v_dual_sub_f32 v84, v11, v8
	v_dual_sub_f32 v65, v82, v83 :: v_dual_sub_f32 v76, v32, v17
	v_dual_add_f32 v67, v11, v17 :: v_dual_sub_f32 v68, v80, v83
	v_dual_add_f32 v80, v8, v32 :: v_dual_add_f32 v77, v9, v77
	v_sub_f32_e32 v85, v17, v32
	v_dual_sub_f32 v69, v81, v82 :: v_dual_sub_f32 v70, v8, v11
	v_fma_f32 v6, -0.5, v10, v30
	v_dual_add_f32 v86, v13, v14 :: v_dual_add_f32 v13, v22, v7
	v_fma_f32 v8, -0.5, v16, v30
	v_add_f32_e32 v30, v18, v19
	v_fma_f32 v7, -0.5, v25, v31
	v_dual_add_f32 v35, v29, v35 :: v_dual_add_f32 v16, v55, v81
	v_fma_f32 v9, -0.5, v38, v31
	v_add_f32_e32 v31, v39, v41
	v_fma_f32 v10, -0.5, v56, v42
	v_dual_add_f32 v38, v59, v60 :: v_dual_add_f32 v39, v62, v65
	v_fma_f32 v42, -0.5, v61, v42
	v_dual_add_f32 v19, v66, v11 :: v_dual_add_f32 v22, v63, v12
	v_fma_f32 v11, -0.5, v67, v43
	v_dual_fmac_f32 v43, -0.5, v80 :: v_dual_sub_f32 v60, v40, v33
	v_dual_add_f32 v55, v84, v85 :: v_dual_add_f32 v84, v15, v34
	v_add_f32_e32 v25, v20, v33
	v_dual_sub_f32 v29, v12, v20 :: v_dual_sub_f32 v80, v15, v21
	v_add_f32_e32 v61, v12, v40
	v_sub_f32_e32 v62, v20, v12
	v_dual_sub_f32 v65, v33, v40 :: v_dual_add_f32 v66, v64, v15
	v_add_f32_e32 v67, v21, v27
	v_dual_add_f32 v41, v70, v76 :: v_dual_sub_f32 v56, v15, v34
	v_dual_sub_f32 v59, v21, v27 :: v_dual_sub_f32 v70, v12, v40
	v_dual_sub_f32 v76, v20, v33 :: v_dual_sub_f32 v81, v34, v27
	v_dual_fmamk_f32 v14, v24, 0x3f737871, v8 :: v_dual_sub_f32 v85, v21, v15
	v_dual_fmac_f32 v8, 0xbf737871, v24 :: v_dual_sub_f32 v87, v27, v34
	v_add_f32_e32 v36, v13, v36
	v_dual_add_f32 v77, v77, v78 :: v_dual_fmamk_f32 v12, v23, 0xbf737871, v6
	v_dual_fmac_f32 v6, 0x3f737871, v23 :: v_dual_fmamk_f32 v13, v26, 0x3f737871, v7
	v_add_f32_e32 v78, v16, v82
	v_dual_fmac_f32 v7, 0xbf737871, v26 :: v_dual_fmamk_f32 v16, v57, 0xbf737871, v10
	v_fmamk_f32 v15, v28, 0xbf737871, v9
	v_dual_fmac_f32 v9, 0x3f737871, v28 :: v_dual_fmamk_f32 v18, v58, 0x3f737871, v42
	v_fmac_f32_e32 v10, 0x3f737871, v57
	v_dual_add_f32 v82, v19, v17 :: v_dual_fmamk_f32 v17, v68, 0x3f737871, v11
	v_dual_fmamk_f32 v19, v69, 0xbf737871, v43 :: v_dual_add_f32 v88, v22, v20
	v_dual_fmac_f32 v43, 0x3f737871, v69 :: v_dual_add_f32 v60, v29, v60
	v_fma_f32 v20, -0.5, v25, v63
	v_fma_f32 v63, -0.5, v61, v63
	v_add_f32_e32 v61, v62, v65
	v_dual_add_f32 v29, v66, v21 :: v_dual_add_f32 v22, v77, v79
	v_fma_f32 v21, -0.5, v67, v64
	v_fmac_f32_e32 v64, -0.5, v84
	v_dual_fmac_f32 v42, 0xbf737871, v58 :: v_dual_fmac_f32 v11, 0xbf737871, v68
	v_dual_add_f32 v62, v80, v81 :: v_dual_add_f32 v65, v85, v87
	v_fmac_f32_e32 v12, 0xbf167918, v24
	v_dual_fmac_f32 v14, 0xbf167918, v23 :: v_dual_fmac_f32 v7, 0xbf167918, v28
	v_dual_fmac_f32 v8, 0x3f167918, v23 :: v_dual_fmac_f32 v13, 0x3f167918, v28
	v_fmac_f32_e32 v15, 0x3f167918, v26
	v_dual_fmac_f32 v9, 0xbf167918, v26 :: v_dual_fmac_f32 v18, 0xbf167918, v57
	v_dual_fmac_f32 v16, 0xbf167918, v58 :: v_dual_add_f32 v25, v82, v32
	v_dual_fmac_f32 v43, 0xbf167918, v68 :: v_dual_add_f32 v32, v88, v33
	v_fmamk_f32 v26, v56, 0xbf737871, v20
	v_dual_fmac_f32 v20, 0x3f737871, v56 :: v_dual_add_f32 v33, v29, v27
	v_fmamk_f32 v28, v59, 0x3f737871, v63
	v_fmac_f32_e32 v63, 0xbf737871, v59
	v_fmamk_f32 v27, v70, 0x3f737871, v21
	v_fmac_f32_e32 v21, 0xbf737871, v70
	;; [unrolled: 2-line block ×3, first 2 shown]
	v_dual_fmac_f32 v6, 0x3f167918, v24 :: v_dual_add_f32 v23, v36, v37
	v_dual_fmac_f32 v10, 0x3f167918, v58 :: v_dual_fmac_f32 v17, 0x3f167918, v69
	v_dual_fmac_f32 v42, 0x3f167918, v57 :: v_dual_fmac_f32 v19, 0x3f167918, v68
	v_dual_add_f32 v24, v78, v83 :: v_dual_fmac_f32 v11, 0xbf167918, v69
	v_dual_fmac_f32 v12, 0x3e9e377a, v86 :: v_dual_fmac_f32 v13, 0x3e9e377a, v35
	v_dual_fmac_f32 v14, 0x3e9e377a, v30 :: v_dual_fmac_f32 v15, 0x3e9e377a, v31
	;; [unrolled: 1-line block ×5, first 2 shown]
	v_dual_add_f32 v31, v33, v34 :: v_dual_fmac_f32 v28, 0xbf167918, v56
	v_fmac_f32_e32 v27, 0x3f167918, v76
	v_fmac_f32_e32 v29, 0x3f167918, v70
	;; [unrolled: 1-line block ×3, first 2 shown]
	v_dual_fmac_f32 v6, 0x3e9e377a, v86 :: v_dual_fmac_f32 v7, 0x3e9e377a, v35
	v_dual_fmac_f32 v16, 0x3e9e377a, v38 :: v_dual_fmac_f32 v17, 0x3e9e377a, v41
	;; [unrolled: 1-line block ×6, first 2 shown]
	v_add_f32_e32 v30, v32, v40
	v_dual_fmac_f32 v10, 0x3e9e377a, v38 :: v_dual_fmac_f32 v11, 0x3e9e377a, v41
	v_dual_fmac_f32 v28, 0x3e9e377a, v61 :: v_dual_fmac_f32 v21, 0x3e9e377a, v62
	v_fmac_f32_e32 v29, 0x3e9e377a, v65
	v_fmac_f32_e32 v64, 0x3e9e377a, v65
	ds_store_2addr_b64 v73, v[22:23], v[12:13] offset1:11
	ds_store_2addr_b64 v73, v[14:15], v[8:9] offset0:22 offset1:33
	ds_store_b64 v73, v[6:7] offset:352
	ds_store_2addr_b64 v74, v[24:25], v[16:17] offset1:11
	ds_store_2addr_b64 v74, v[18:19], v[42:43] offset0:22 offset1:33
	ds_store_b64 v74, v[10:11] offset:352
	ds_store_2addr_b64 v75, v[30:31], v[26:27] offset1:11
	ds_store_2addr_b64 v75, v[28:29], v[63:64] offset0:22 offset1:33
	ds_store_b64 v75, v[20:21] offset:352
	v_mov_b32_e32 v27, v1
	global_wb scope:SCOPE_SE
	s_wait_dscnt 0x0
	s_barrier_signal -1
	s_barrier_wait -1
	global_inv scope:SCOPE_SE
	s_clause 0x1
	global_load_b128 v[6:9], v[71:72], off offset:352
	global_load_b128 v[10:13], v[71:72], off offset:368
	v_and_b32_e32 v30, 0xff, v0
	v_dual_mov_b32 v23, v1 :: v_dual_lshlrev_b32 v22, 1, v51
	v_dual_mov_b32 v25, v1 :: v_dual_lshlrev_b32 v24, 1, v5
	s_delay_alu instid0(VALU_DEP_3)
	v_lshlrev_b32_e32 v0, 5, v30
	s_clause 0x1
	global_load_b128 v[14:17], v0, s[8:9] offset:352
	global_load_b128 v[18:21], v0, s[8:9] offset:368
	v_lshlrev_b64_e32 v[42:43], 3, v[22:23]
	v_lshlrev_b64_e32 v[59:60], 3, v[24:25]
	ds_load_2addr_b64 v[22:25], v2 offset0:110 offset1:165
	v_lshlrev_b32_e32 v0, 1, v48
	s_delay_alu instid0(VALU_DEP_1) | instskip(SKIP_1) | instid1(VALU_DEP_2)
	v_lshlrev_b64_e32 v[28:29], 3, v[0:1]
	v_add_nc_u32_e32 v26, 0x14a, v0
	v_add_co_u32 v63, s0, s8, v28
	s_delay_alu instid0(VALU_DEP_2) | instskip(SKIP_1) | instid1(VALU_DEP_4)
	v_lshlrev_b64_e32 v[61:62], 3, v[26:27]
	s_wait_alu 0xf1ff
	v_add_co_ci_u32_e64 v64, s0, s9, v29, s0
	ds_load_2addr_b64 v[26:29], v52 offset0:19 offset1:74
	v_add_co_u32 v42, s0, s8, v42
	s_wait_alu 0xf1ff
	v_add_co_ci_u32_e64 v43, s0, s9, v43, s0
	s_wait_loadcnt_dscnt 0x300
	v_mul_f32_e32 v73, v9, v29
	v_mul_f32_e32 v5, v7, v25
	v_lshl_add_u32 v51, v30, 3, 0
	ds_load_2addr_b64 v[30:33], v4 offset0:111 offset1:166
	ds_load_2addr_b64 v[34:37], v53 offset0:93 offset1:148
	ds_load_2addr_b32 v[65:66], v54 offset0:184 offset1:185
	ds_load_2addr_b64 v[38:41], v52 offset0:129 offset1:184
	ds_load_2addr_b64 v[55:58], v50 offset0:75 offset1:130
	ds_load_b64 v[67:68], v49
	ds_load_b64 v[69:70], v3
	v_add_nc_u32_e32 v0, 0x1b8, v0
	v_dual_mul_f32 v72, v7, v24 :: v_dual_add_nc_u32 v71, 0x1000, v51
	v_mul_f32_e32 v74, v9, v28
	global_wb scope:SCOPE_SE
	s_wait_loadcnt_dscnt 0x0
	s_barrier_signal -1
	v_mul_f32_e32 v83, v27, v15
	s_barrier_wait -1
	global_inv scope:SCOPE_SE
	v_mul_f32_e32 v75, v11, v31
	v_dual_mul_f32 v76, v11, v30 :: v_dual_mul_f32 v77, v13, v37
	v_dual_mul_f32 v78, v13, v36 :: v_dual_mul_f32 v79, v66, v7
	;; [unrolled: 1-line block ×3, first 2 shown]
	v_mul_f32_e32 v7, v7, v65
	v_dual_mul_f32 v11, v32, v11 :: v_dual_mul_f32 v84, v41, v17
	v_dual_mul_f32 v82, v56, v13 :: v_dual_mul_f32 v85, v35, v19
	v_mul_f32_e32 v86, v58, v21
	v_mul_f32_e32 v15, v26, v15
	v_fmac_f32_e32 v75, v10, v30
	v_fmac_f32_e32 v77, v12, v36
	;; [unrolled: 1-line block ×3, first 2 shown]
	v_fma_f32 v24, v6, v25, -v72
	v_fmac_f32_e32 v73, v8, v28
	v_fma_f32 v25, v8, v29, -v74
	v_fma_f32 v28, v10, v31, -v76
	v_mul_f32_e32 v17, v40, v17
	v_dual_mul_f32 v9, v38, v9 :: v_dual_fmac_f32 v82, v55, v12
	v_dual_mul_f32 v13, v55, v13 :: v_dual_fmac_f32 v84, v40, v16
	v_fma_f32 v29, v12, v37, -v78
	v_fmac_f32_e32 v79, v6, v65
	v_fmac_f32_e32 v80, v38, v8
	v_fma_f32 v6, v66, v6, -v7
	v_fmac_f32_e32 v81, v32, v10
	v_fma_f32 v30, v33, v10, -v11
	v_dual_fmac_f32 v83, v26, v14 :: v_dual_sub_f32 v36, v28, v29
	v_fmac_f32_e32 v86, v57, v20
	v_fma_f32 v7, v27, v14, -v15
	v_sub_f32_e32 v32, v25, v28
	v_fma_f32 v10, v41, v16, -v17
	v_sub_f32_e32 v16, v75, v77
	v_dual_add_f32 v14, v5, v77 :: v_dual_mul_f32 v19, v34, v19
	v_fma_f32 v8, v39, v8, -v9
	v_mul_f32_e32 v21, v57, v21
	v_fma_f32 v31, v56, v12, -v13
	v_sub_f32_e32 v12, v5, v73
	v_fma_f32 v26, v35, v18, -v19
	v_sub_f32_e32 v40, v8, v30
	v_fma_f32 v21, v58, v20, -v21
	v_dual_sub_f32 v15, v73, v5 :: v_dual_sub_f32 v76, v6, v8
	v_dual_add_f32 v17, v68, v24 :: v_dual_sub_f32 v78, v31, v30
	v_dual_sub_f32 v19, v24, v25 :: v_dual_sub_f32 v92, v10, v26
	v_dual_sub_f32 v20, v29, v28 :: v_dual_sub_f32 v27, v24, v29
	v_dual_sub_f32 v72, v79, v82 :: v_dual_add_f32 v35, v24, v29
	v_add_f32_e32 v98, v15, v16
	v_dual_sub_f32 v24, v25, v24 :: v_dual_fmac_f32 v85, v34, v18
	v_add_f32_e32 v38, v80, v81
	v_add_f32_e32 v18, v25, v28
	v_sub_f32_e32 v34, v73, v75
	v_dual_sub_f32 v13, v77, v75 :: v_dual_add_f32 v66, v8, v30
	v_dual_add_f32 v11, v73, v75 :: v_dual_add_f32 v56, v79, v82
	v_dual_add_f32 v37, v69, v79 :: v_dual_sub_f32 v74, v80, v81
	v_dual_sub_f32 v41, v79, v80 :: v_dual_sub_f32 v94, v86, v85
	v_sub_f32_e32 v57, v80, v79
	v_add_f32_e32 v65, v70, v6
	v_dual_add_f32 v79, v6, v31 :: v_dual_add_f32 v100, v19, v20
	v_dual_add_f32 v9, v67, v5 :: v_dual_sub_f32 v58, v81, v82
	v_dual_sub_f32 v33, v5, v77 :: v_dual_sub_f32 v88, v30, v31
	v_dual_sub_f32 v39, v6, v31 :: v_dual_add_f32 v90, v84, v85
	v_sub_f32_e32 v87, v8, v6
	v_dual_add_f32 v97, v12, v13 :: v_dual_add_f32 v12, v23, v7
	v_fma_f32 v6, -0.5, v18, v68
	v_dual_add_f32 v89, v22, v83 :: v_dual_sub_f32 v16, v21, v26
	v_dual_sub_f32 v55, v82, v81 :: v_dual_sub_f32 v96, v84, v83
	v_add_f32_e32 v95, v83, v86
	v_fma_f32 v5, -0.5, v11, v67
	v_fma_f32 v67, -0.5, v14, v67
	v_sub_f32_e32 v11, v85, v86
	v_add_f32_e32 v14, v17, v25
	v_dual_fmac_f32 v68, -0.5, v35 :: v_dual_add_f32 v35, v24, v36
	v_dual_add_f32 v17, v7, v21 :: v_dual_add_f32 v24, v65, v8
	v_fma_f32 v8, -0.5, v66, v70
	v_dual_fmac_f32 v70, -0.5, v79 :: v_dual_add_f32 v13, v10, v26
	v_add_f32_e32 v73, v9, v73
	v_dual_sub_f32 v91, v7, v21 :: v_dual_sub_f32 v18, v10, v7
	v_dual_sub_f32 v93, v83, v84 :: v_dual_sub_f32 v20, v26, v21
	v_dual_sub_f32 v15, v7, v10 :: v_dual_add_f32 v28, v14, v28
	v_add_f32_e32 v19, v37, v80
	v_fma_f32 v7, -0.5, v38, v69
	v_fma_f32 v69, -0.5, v56, v69
	v_add_f32_e32 v37, v57, v58
	v_dual_add_f32 v57, v12, v10 :: v_dual_fmamk_f32 v12, v33, 0x3f737871, v6
	v_dual_add_f32 v25, v89, v84 :: v_dual_add_f32 v30, v24, v30
	v_fmac_f32_e32 v6, 0xbf737871, v33
	v_dual_sub_f32 v99, v84, v85 :: v_dual_add_f32 v58, v15, v16
	v_add_f32_e32 v36, v41, v55
	v_add_f32_e32 v38, v76, v78
	v_dual_sub_f32 v83, v83, v86 :: v_dual_add_f32 v66, v73, v75
	v_fma_f32 v9, -0.5, v90, v22
	v_fma_f32 v22, -0.5, v95, v22
	v_add_f32_e32 v56, v96, v11
	v_fma_f32 v10, -0.5, v13, v23
	v_dual_fmamk_f32 v11, v27, 0xbf737871, v5 :: v_dual_fmamk_f32 v14, v34, 0xbf737871, v68
	v_fmac_f32_e32 v23, -0.5, v17
	v_dual_add_f32 v41, v87, v88 :: v_dual_fmac_f32 v68, 0x3f737871, v34
	v_fmac_f32_e32 v5, 0x3f737871, v27
	v_fmamk_f32 v13, v32, 0x3f737871, v67
	v_fmac_f32_e32 v67, 0xbf737871, v32
	v_dual_add_f32 v65, v18, v20 :: v_dual_fmamk_f32 v24, v92, 0x3f737871, v22
	v_dual_add_f32 v73, v19, v81 :: v_dual_fmac_f32 v12, 0x3f167918, v34
	v_fmamk_f32 v15, v39, 0xbf737871, v7
	v_fmamk_f32 v17, v40, 0x3f737871, v69
	;; [unrolled: 1-line block ×3, first 2 shown]
	v_dual_fmamk_f32 v18, v74, 0xbf737871, v70 :: v_dual_add_f32 v55, v93, v94
	v_fmac_f32_e32 v8, 0xbf737871, v72
	v_fmac_f32_e32 v69, 0xbf737871, v40
	v_dual_fmac_f32 v70, 0x3f737871, v74 :: v_dual_add_f32 v75, v25, v85
	v_fmac_f32_e32 v6, 0xbf167918, v34
	v_fmac_f32_e32 v7, 0x3f737871, v39
	v_fmamk_f32 v19, v91, 0xbf737871, v9
	v_fmac_f32_e32 v9, 0x3f737871, v91
	v_fmac_f32_e32 v22, 0xbf737871, v92
	v_fmamk_f32 v20, v83, 0x3f737871, v10
	v_dual_fmac_f32 v10, 0xbf737871, v83 :: v_dual_fmamk_f32 v25, v99, 0xbf737871, v23
	v_fmac_f32_e32 v23, 0x3f737871, v99
	v_dual_fmac_f32 v11, 0xbf167918, v32 :: v_dual_fmac_f32 v68, 0xbf167918, v33
	v_dual_add_f32 v57, v57, v26 :: v_dual_fmac_f32 v14, 0x3f167918, v33
	v_dual_add_f32 v26, v66, v77 :: v_dual_fmac_f32 v5, 0x3f167918, v32
	v_fmac_f32_e32 v16, 0x3f167918, v74
	v_dual_fmac_f32 v13, 0xbf167918, v27 :: v_dual_fmac_f32 v8, 0xbf167918, v74
	v_dual_fmac_f32 v67, 0x3f167918, v27 :: v_dual_fmac_f32 v18, 0x3f167918, v72
	v_dual_add_f32 v27, v28, v29 :: v_dual_fmac_f32 v70, 0xbf167918, v72
	v_dual_add_f32 v28, v73, v82 :: v_dual_fmac_f32 v15, 0xbf167918, v40
	v_fmac_f32_e32 v24, 0xbf167918, v91
	v_fmac_f32_e32 v17, 0xbf167918, v39
	;; [unrolled: 1-line block ×3, first 2 shown]
	v_dual_add_f32 v29, v30, v31 :: v_dual_fmac_f32 v12, 0x3e9e377a, v100
	v_dual_add_f32 v30, v75, v86 :: v_dual_fmac_f32 v7, 0x3f167918, v40
	v_fmac_f32_e32 v22, 0x3f167918, v91
	v_dual_fmac_f32 v19, 0xbf167918, v92 :: v_dual_fmac_f32 v10, 0xbf167918, v99
	v_dual_fmac_f32 v9, 0x3f167918, v92 :: v_dual_fmac_f32 v20, 0x3f167918, v99
	v_fmac_f32_e32 v25, 0x3f167918, v83
	v_fmac_f32_e32 v23, 0xbf167918, v83
	v_dual_fmac_f32 v11, 0x3e9e377a, v97 :: v_dual_fmac_f32 v14, 0x3e9e377a, v35
	v_dual_fmac_f32 v5, 0x3e9e377a, v97 :: v_dual_fmac_f32 v68, 0x3e9e377a, v35
	v_dual_fmac_f32 v13, 0x3e9e377a, v98 :: v_dual_fmac_f32 v18, 0x3e9e377a, v41
	v_dual_fmac_f32 v67, 0x3e9e377a, v98 :: v_dual_fmac_f32 v70, 0x3e9e377a, v41
	v_dual_add_f32 v31, v57, v21 :: v_dual_fmac_f32 v6, 0x3e9e377a, v100
	v_dual_fmac_f32 v15, 0x3e9e377a, v36 :: v_dual_fmac_f32 v16, 0x3e9e377a, v38
	v_dual_fmac_f32 v17, 0x3e9e377a, v37 :: v_dual_fmac_f32 v24, 0x3e9e377a, v56
	;; [unrolled: 1-line block ×4, first 2 shown]
	v_lshlrev_b64_e32 v[0:1], 3, v[0:1]
	v_dual_fmac_f32 v19, 0x3e9e377a, v55 :: v_dual_fmac_f32 v20, 0x3e9e377a, v58
	v_dual_fmac_f32 v9, 0x3e9e377a, v55 :: v_dual_fmac_f32 v10, 0x3e9e377a, v58
	v_fmac_f32_e32 v25, 0x3e9e377a, v65
	v_fmac_f32_e32 v23, 0x3e9e377a, v65
	ds_store_2addr_b64 v49, v[26:27], v[11:12] offset1:55
	ds_store_2addr_b64 v49, v[13:14], v[67:68] offset0:110 offset1:165
	ds_store_2addr_b64 v54, v[5:6], v[28:29] offset0:92 offset1:147
	;; [unrolled: 1-line block ×6, first 2 shown]
	ds_store_b64 v51, v[9:10] offset:6160
	v_add_co_u32 v13, s0, s8, v59
	s_wait_alu 0xf1ff
	v_add_co_ci_u32_e64 v14, s0, s9, v60, s0
	v_add_co_u32 v17, s0, s8, v61
	s_wait_alu 0xf1ff
	v_add_co_ci_u32_e64 v18, s0, s9, v62, s0
	v_add_co_u32 v0, s0, s8, v0
	global_wb scope:SCOPE_SE
	s_wait_dscnt 0x0
	s_barrier_signal -1
	s_barrier_wait -1
	global_inv scope:SCOPE_SE
	global_load_b128 v[5:8], v[63:64], off offset:2112
	s_wait_alu 0xf1ff
	v_add_co_ci_u32_e64 v1, s0, s9, v1, s0
	s_clause 0x3
	global_load_b128 v[9:12], v[42:43], off offset:2112
	global_load_b128 v[13:16], v[13:14], off offset:2112
	;; [unrolled: 1-line block ×4, first 2 shown]
	ds_load_2addr_b64 v[25:28], v52 offset0:19 offset1:74
	ds_load_2addr_b64 v[29:32], v4 offset0:111 offset1:166
	;; [unrolled: 1-line block ×4, first 2 shown]
	ds_load_2addr_b64 v[51:54], v49 offset1:220
	ds_load_b64 v[0:1], v3
	ds_load_2addr_b64 v[55:58], v50 offset0:75 offset1:130
	ds_load_2addr_b64 v[59:62], v2 offset0:110 offset1:165
	v_add_nc_u32_e32 v42, 0x1000, v2
	v_add_nc_u32_e32 v41, 0x800, v2
	global_wb scope:SCOPE_SE
	s_wait_loadcnt_dscnt 0x0
	s_barrier_signal -1
	s_barrier_wait -1
	global_inv scope:SCOPE_SE
	v_mul_f32_e32 v4, v6, v26
	v_dual_mul_f32 v6, v6, v25 :: v_dual_mul_f32 v43, v8, v32
	v_mul_f32_e32 v8, v8, v31
	v_mul_f32_e32 v50, v10, v28
	v_dual_mul_f32 v10, v10, v27 :: v_dual_mul_f32 v63, v12, v34
	v_fmac_f32_e32 v4, v5, v25
	v_mul_f32_e32 v12, v12, v33
	v_mul_f32_e32 v64, v38, v14
	v_dual_mul_f32 v14, v37, v14 :: v_dual_mul_f32 v65, v36, v16
	v_mul_f32_e32 v68, v30, v22
	v_mul_f32_e32 v16, v35, v16
	;; [unrolled: 1-line block ×3, first 2 shown]
	v_dual_mul_f32 v18, v39, v18 :: v_dual_mul_f32 v67, v56, v20
	v_mul_f32_e32 v22, v29, v22
	v_mul_f32_e32 v20, v55, v20
	v_dual_mul_f32 v69, v58, v24 :: v_dual_fmac_f32 v50, v9, v27
	v_mul_f32_e32 v24, v57, v24
	v_fma_f32 v5, v5, v26, -v6
	v_dual_fmac_f32 v43, v7, v31 :: v_dual_fmac_f32 v64, v37, v13
	v_fma_f32 v7, v7, v32, -v8
	v_fma_f32 v6, v9, v28, -v10
	v_fmac_f32_e32 v63, v11, v33
	v_fma_f32 v9, v11, v34, -v12
	v_fma_f32 v8, v38, v13, -v14
	v_add_f32_e32 v14, v4, v43
	v_dual_fmac_f32 v65, v35, v15 :: v_dual_fmac_f32 v68, v29, v21
	v_fma_f32 v11, v36, v15, -v16
	v_dual_fmac_f32 v66, v39, v17 :: v_dual_fmac_f32 v69, v57, v23
	v_fma_f32 v10, v40, v17, -v18
	v_dual_fmac_f32 v67, v55, v19 :: v_dual_add_f32 v16, v52, v5
	v_fma_f32 v15, v56, v19, -v20
	v_fma_f32 v12, v30, v21, -v22
	;; [unrolled: 1-line block ×3, first 2 shown]
	v_dual_add_f32 v13, v51, v4 :: v_dual_add_f32 v18, v5, v7
	v_dual_add_f32 v21, v0, v50 :: v_dual_add_f32 v22, v50, v63
	;; [unrolled: 1-line block ×3, first 2 shown]
	v_dual_sub_f32 v19, v5, v7 :: v_dual_add_f32 v28, v64, v65
	v_dual_sub_f32 v26, v50, v63 :: v_dual_add_f32 v27, v59, v64
	v_dual_add_f32 v30, v60, v8 :: v_dual_add_f32 v33, v61, v66
	v_add_f32_e32 v31, v8, v11
	v_dual_add_f32 v34, v66, v67 :: v_dual_add_f32 v39, v53, v68
	v_dual_add_f32 v37, v10, v15 :: v_dual_add_f32 v40, v68, v69
	v_add_f32_e32 v56, v12, v17
	v_dual_sub_f32 v20, v4, v43 :: v_dual_sub_f32 v23, v6, v9
	v_fma_f32 v6, -0.5, v14, v51
	v_add_f32_e32 v5, v16, v7
	v_fma_f32 v7, -0.5, v18, v52
	v_dual_sub_f32 v29, v8, v11 :: v_dual_add_f32 v36, v62, v10
	v_dual_add_f32 v8, v21, v63 :: v_dual_fmac_f32 v1, -0.5, v25
	v_fma_f32 v0, -0.5, v22, v0
	v_dual_sub_f32 v32, v64, v65 :: v_dual_sub_f32 v35, v10, v15
	v_dual_sub_f32 v38, v66, v67 :: v_dual_sub_f32 v57, v68, v69
	v_dual_sub_f32 v50, v12, v17 :: v_dual_add_f32 v55, v54, v12
	v_dual_add_f32 v4, v13, v43 :: v_dual_add_f32 v9, v24, v9
	v_add_f32_e32 v10, v27, v65
	v_fma_f32 v12, -0.5, v28, v59
	v_add_f32_e32 v11, v30, v11
	v_fma_f32 v13, -0.5, v31, v60
	v_fma_f32 v61, -0.5, v34, v61
	v_fmac_f32_e32 v62, -0.5, v37
	v_fma_f32 v53, -0.5, v40, v53
	v_fmac_f32_e32 v54, -0.5, v56
	v_fmamk_f32 v18, v19, 0xbf5db3d7, v6
	v_dual_fmac_f32 v6, 0x3f5db3d7, v19 :: v_dual_fmamk_f32 v21, v26, 0x3f5db3d7, v1
	v_fmamk_f32 v19, v20, 0x3f5db3d7, v7
	v_dual_fmac_f32 v7, 0xbf5db3d7, v20 :: v_dual_fmamk_f32 v20, v23, 0xbf5db3d7, v0
	v_dual_fmac_f32 v1, 0xbf5db3d7, v26 :: v_dual_add_f32 v14, v33, v67
	v_add_f32_e32 v17, v55, v17
	v_dual_add_f32 v15, v36, v15 :: v_dual_add_f32 v16, v39, v69
	v_dual_fmac_f32 v0, 0x3f5db3d7, v23 :: v_dual_fmamk_f32 v23, v32, 0x3f5db3d7, v13
	v_dual_fmamk_f32 v22, v29, 0xbf5db3d7, v12 :: v_dual_fmac_f32 v13, 0xbf5db3d7, v32
	v_fmac_f32_e32 v12, 0x3f5db3d7, v29
	v_fmamk_f32 v24, v35, 0xbf5db3d7, v61
	v_fmac_f32_e32 v61, 0x3f5db3d7, v35
	v_fmamk_f32 v25, v38, 0x3f5db3d7, v62
	v_fmac_f32_e32 v62, 0xbf5db3d7, v38
	v_fmamk_f32 v26, v50, 0xbf5db3d7, v53
	v_fmac_f32_e32 v53, 0x3f5db3d7, v50
	v_fmamk_f32 v27, v57, 0x3f5db3d7, v54
	v_fmac_f32_e32 v54, 0xbf5db3d7, v57
	ds_store_b64 v49, v[4:5]
	ds_store_b64 v49, v[18:19] offset:2200
	ds_store_b64 v49, v[6:7] offset:4400
	ds_store_b64 v3, v[8:9]
	ds_store_b64 v3, v[20:21] offset:2200
	ds_store_b64 v3, v[0:1] offset:4400
	ds_store_2addr_b64 v2, v[10:11], v[14:15] offset0:110 offset1:165
	ds_store_2addr_b64 v41, v[22:23], v[24:25] offset0:129 offset1:184
	;; [unrolled: 1-line block ×3, first 2 shown]
	ds_store_b64 v49, v[16:17] offset:1760
	ds_store_b64 v49, v[26:27] offset:3960
	;; [unrolled: 1-line block ×3, first 2 shown]
	global_wb scope:SCOPE_SE
	s_wait_dscnt 0x0
	s_barrier_signal -1
	s_barrier_wait -1
	global_inv scope:SCOPE_SE
	s_and_saveexec_b32 s0, vcc_lo
	s_cbranch_execz .LBB0_17
; %bb.16:
	v_mul_lo_u32 v2, s3, v46
	v_mul_lo_u32 v3, s2, v47
	v_mad_co_u64_u32 v[0:1], null, s2, v46, 0
	v_mad_co_u64_u32 v[4:5], null, s16, v48, 0
	v_lshl_add_u32 v23, v48, 3, 0
	v_add_nc_u32_e32 v16, 0xdc, v48
	v_add_nc_u32_e32 v15, 0x6e, v48
	;; [unrolled: 1-line block ×3, first 2 shown]
	v_add3_u32 v1, v1, v3, v2
	v_add_nc_u32_e32 v20, 0x181, v48
	v_mov_b32_e32 v2, v5
	v_add_nc_u32_e32 v22, 0x1b8, v48
	v_add_nc_u32_e32 v26, 0x800, v23
	v_lshlrev_b64_e32 v[8:9], 3, v[0:1]
	v_add_nc_u32_e32 v17, 0x113, v48
	v_mad_co_u64_u32 v[10:11], null, s17, v48, v[2:3]
	v_add_nc_u32_e32 v12, 55, v48
	ds_load_2addr_b64 v[0:3], v23 offset1:55
	v_add_co_u32 v13, vcc_lo, s6, v8
	s_wait_alu 0xfffd
	v_add_co_ci_u32_e32 v14, vcc_lo, s7, v9, vcc_lo
	v_mov_b32_e32 v5, v10
	v_mad_co_u64_u32 v[6:7], null, s16, v12, 0
	v_lshlrev_b64_e32 v[8:9], 3, v[44:45]
	v_add_nc_u32_e32 v27, 0x1ef, v48
	s_delay_alu instid0(VALU_DEP_4) | instskip(NEXT) | instid1(VALU_DEP_3)
	v_lshlrev_b64_e32 v[4:5], 3, v[4:5]
	v_mad_co_u64_u32 v[10:11], null, s17, v12, v[7:8]
	v_add_co_u32 v24, vcc_lo, v13, v8
	v_mad_co_u64_u32 v[11:12], null, s16, v15, 0
	s_wait_alu 0xfffd
	v_add_co_ci_u32_e32 v25, vcc_lo, v14, v9, vcc_lo
	s_delay_alu instid0(VALU_DEP_4) | instskip(SKIP_1) | instid1(VALU_DEP_4)
	v_dual_mov_b32 v7, v10 :: v_dual_add_nc_u32 v14, 0xa5, v48
	v_add_co_u32 v4, vcc_lo, v24, v4
	v_mov_b32_e32 v8, v12
	s_delay_alu instid0(VALU_DEP_3) | instskip(NEXT) | instid1(VALU_DEP_4)
	v_mad_co_u64_u32 v[9:10], null, s16, v14, 0
	v_lshlrev_b64_e32 v[6:7], 3, v[6:7]
	s_wait_alu 0xfffd
	v_add_co_ci_u32_e32 v5, vcc_lo, v25, v5, vcc_lo
	s_delay_alu instid0(VALU_DEP_3) | instskip(NEXT) | instid1(VALU_DEP_4)
	v_mad_co_u64_u32 v[12:13], null, s17, v15, v[8:9]
	v_mov_b32_e32 v8, v10
	s_delay_alu instid0(VALU_DEP_4) | instskip(SKIP_2) | instid1(VALU_DEP_3)
	v_add_co_u32 v6, vcc_lo, v24, v6
	s_wait_alu 0xfffd
	v_add_co_ci_u32_e32 v7, vcc_lo, v25, v7, vcc_lo
	v_mad_co_u64_u32 v[13:14], null, s17, v14, v[8:9]
	v_mad_co_u64_u32 v[14:15], null, s16, v16, 0
	s_wait_dscnt 0x0
	s_clause 0x1
	global_store_b64 v[4:5], v[0:1], off
	global_store_b64 v[6:7], v[2:3], off
	ds_load_2addr_b64 v[0:3], v23 offset0:110 offset1:165
	v_mad_co_u64_u32 v[7:8], null, s16, v17, 0
	v_mov_b32_e32 v10, v13
	v_lshlrev_b64_e32 v[4:5], 3, v[11:12]
	v_mov_b32_e32 v6, v15
	s_delay_alu instid0(VALU_DEP_3) | instskip(NEXT) | instid1(VALU_DEP_2)
	v_lshlrev_b64_e32 v[9:10], 3, v[9:10]
	v_mad_co_u64_u32 v[11:12], null, s17, v16, v[6:7]
	v_mov_b32_e32 v6, v8
	v_add_co_u32 v4, vcc_lo, v24, v4
	s_wait_alu 0xfffd
	v_add_co_ci_u32_e32 v5, vcc_lo, v25, v5, vcc_lo
	v_mad_co_u64_u32 v[12:13], null, s16, v18, 0
	v_add_co_u32 v8, vcc_lo, v24, v9
	v_mad_co_u64_u32 v[16:17], null, s17, v17, v[6:7]
	s_wait_alu 0xfffd
	v_add_co_ci_u32_e32 v9, vcc_lo, v25, v10, vcc_lo
	v_dual_mov_b32 v15, v11 :: v_dual_add_nc_u32 v6, 0x400, v23
	s_wait_dscnt 0x0
	s_clause 0x1
	global_store_b64 v[4:5], v[0:1], off
	global_store_b64 v[8:9], v[2:3], off
	v_mov_b32_e32 v4, v13
	v_mov_b32_e32 v8, v16
	ds_load_2addr_b64 v[0:3], v6 offset0:92 offset1:147
	v_lshlrev_b64_e32 v[5:6], 3, v[14:15]
	v_mad_co_u64_u32 v[14:15], null, s16, v20, 0
	v_lshlrev_b64_e32 v[16:17], 3, v[7:8]
	s_delay_alu instid0(VALU_DEP_3) | instskip(SKIP_3) | instid1(VALU_DEP_4)
	v_mad_co_u64_u32 v[9:10], null, s17, v18, v[4:5]
	v_add_co_u32 v10, vcc_lo, v24, v5
	s_wait_alu 0xfffd
	v_add_co_ci_u32_e32 v11, vcc_lo, v25, v6, vcc_lo
	v_add_co_u32 v16, vcc_lo, v24, v16
	s_delay_alu instid0(VALU_DEP_4)
	v_mov_b32_e32 v13, v9
	v_mad_co_u64_u32 v[8:9], null, s16, v22, 0
	ds_load_2addr_b64 v[4:7], v26 offset0:74 offset1:129
	v_mad_co_u64_u32 v[18:19], null, s16, v27, 0
	v_mad_co_u64_u32 v[20:21], null, s17, v20, v[15:16]
	v_lshlrev_b64_e32 v[12:13], 3, v[12:13]
	v_mad_co_u64_u32 v[21:22], null, s17, v22, v[9:10]
	s_wait_alu 0xfffd
	v_add_co_ci_u32_e32 v17, vcc_lo, v25, v17, vcc_lo
	v_mov_b32_e32 v9, v19
	v_mov_b32_e32 v15, v20
	v_add_co_u32 v12, vcc_lo, v24, v12
	s_wait_alu 0xfffd
	v_add_co_ci_u32_e32 v13, vcc_lo, v25, v13, vcc_lo
	v_mad_co_u64_u32 v[19:20], null, s17, v27, v[9:10]
	s_wait_dscnt 0x1
	global_store_b64 v[10:11], v[0:1], off
	v_mov_b32_e32 v9, v21
	global_store_b64 v[16:17], v[2:3], off
	v_lshlrev_b64_e32 v[10:11], 3, v[14:15]
	ds_load_2addr_b64 v[0:3], v26 offset0:184 offset1:239
	s_wait_dscnt 0x1
	global_store_b64 v[12:13], v[4:5], off
	v_lshlrev_b64_e32 v[4:5], 3, v[8:9]
	v_add_nc_u32_e32 v16, 0x226, v48
	v_add_nc_u32_e32 v17, 0x25d, v48
	v_add_co_u32 v8, vcc_lo, v24, v10
	s_wait_alu 0xfffd
	v_add_co_ci_u32_e32 v9, vcc_lo, v25, v11, vcc_lo
	v_lshlrev_b64_e32 v[10:11], 3, v[18:19]
	v_add_co_u32 v4, vcc_lo, v24, v4
	v_mad_co_u64_u32 v[12:13], null, s16, v16, 0
	v_mad_co_u64_u32 v[14:15], null, s16, v17, 0
	s_wait_alu 0xfffd
	v_add_co_ci_u32_e32 v5, vcc_lo, v25, v5, vcc_lo
	v_add_co_u32 v10, vcc_lo, v24, v10
	s_wait_alu 0xfffd
	v_add_co_ci_u32_e32 v11, vcc_lo, v25, v11, vcc_lo
	global_store_b64 v[8:9], v[6:7], off
	v_add_nc_u32_e32 v6, 0x294, v48
	s_wait_dscnt 0x0
	s_clause 0x1
	global_store_b64 v[4:5], v[0:1], off
	global_store_b64 v[10:11], v[2:3], off
	v_dual_mov_b32 v0, v13 :: v_dual_mov_b32 v1, v15
	v_add_nc_u32_e32 v20, 0x302, v48
	v_mad_co_u64_u32 v[8:9], null, s16, v6, 0
	v_add_nc_u32_e32 v19, 0x1000, v23
	s_delay_alu instid0(VALU_DEP_4) | instskip(SKIP_1) | instid1(VALU_DEP_4)
	v_mad_co_u64_u32 v[2:3], null, s17, v16, v[0:1]
	v_add_nc_u32_e32 v16, 0x2cb, v48
	v_mov_b32_e32 v0, v9
	s_delay_alu instid0(VALU_DEP_2) | instskip(NEXT) | instid1(VALU_DEP_4)
	v_mad_co_u64_u32 v[10:11], null, s16, v16, 0
	v_mov_b32_e32 v13, v2
	v_mad_co_u64_u32 v[4:5], null, s17, v17, v[1:2]
	s_delay_alu instid0(VALU_DEP_4) | instskip(NEXT) | instid1(VALU_DEP_3)
	v_mad_co_u64_u32 v[5:6], null, s17, v6, v[0:1]
	v_lshlrev_b64_e32 v[6:7], 3, v[12:13]
	v_mad_co_u64_u32 v[12:13], null, s16, v20, 0
	ds_load_2addr_b64 v[0:3], v19 offset0:38 offset1:93
	v_dual_mov_b32 v15, v4 :: v_dual_mov_b32 v4, v11
	v_mov_b32_e32 v9, v5
	v_mov_b32_e32 v11, v13
	s_delay_alu instid0(VALU_DEP_3)
	v_mad_co_u64_u32 v[16:17], null, s17, v16, v[4:5]
	v_add_co_u32 v17, vcc_lo, v24, v6
	s_wait_alu 0xfffd
	v_add_co_ci_u32_e32 v18, vcc_lo, v25, v7, vcc_lo
	ds_load_2addr_b64 v[4:7], v19 offset0:148 offset1:203
	v_mad_co_u64_u32 v[19:20], null, s17, v20, v[11:12]
	v_lshlrev_b64_e32 v[13:14], 3, v[14:15]
	v_mov_b32_e32 v11, v16
	ds_load_b64 v[20:21], v23 offset:6160
	v_lshlrev_b64_e32 v[8:9], 3, v[8:9]
	v_add_co_u32 v15, vcc_lo, v24, v13
	v_mov_b32_e32 v13, v19
	v_lshlrev_b64_e32 v[10:11], 3, v[10:11]
	s_wait_alu 0xfffd
	v_add_co_ci_u32_e32 v16, vcc_lo, v25, v14, vcc_lo
	v_add_co_u32 v8, vcc_lo, v24, v8
	v_lshlrev_b64_e32 v[12:13], 3, v[12:13]
	s_wait_alu 0xfffd
	v_add_co_ci_u32_e32 v9, vcc_lo, v25, v9, vcc_lo
	v_add_co_u32 v10, vcc_lo, v24, v10
	s_wait_alu 0xfffd
	v_add_co_ci_u32_e32 v11, vcc_lo, v25, v11, vcc_lo
	v_add_co_u32 v12, vcc_lo, v24, v12
	s_wait_alu 0xfffd
	v_add_co_ci_u32_e32 v13, vcc_lo, v25, v13, vcc_lo
	s_wait_dscnt 0x2
	s_clause 0x1
	global_store_b64 v[17:18], v[0:1], off
	global_store_b64 v[15:16], v[2:3], off
	s_wait_dscnt 0x1
	s_clause 0x1
	global_store_b64 v[8:9], v[4:5], off
	global_store_b64 v[10:11], v[6:7], off
	s_wait_dscnt 0x0
	global_store_b64 v[12:13], v[20:21], off
.LBB0_17:
	s_nop 0
	s_sendmsg sendmsg(MSG_DEALLOC_VGPRS)
	s_endpgm
	.section	.rodata,"a",@progbits
	.p2align	6, 0x0
	.amdhsa_kernel fft_rtc_back_len825_factors_11_5_5_3_wgs_55_tpt_55_sp_op_CI_CI_sbrr_dirReg
		.amdhsa_group_segment_fixed_size 0
		.amdhsa_private_segment_fixed_size 0
		.amdhsa_kernarg_size 104
		.amdhsa_user_sgpr_count 2
		.amdhsa_user_sgpr_dispatch_ptr 0
		.amdhsa_user_sgpr_queue_ptr 0
		.amdhsa_user_sgpr_kernarg_segment_ptr 1
		.amdhsa_user_sgpr_dispatch_id 0
		.amdhsa_user_sgpr_private_segment_size 0
		.amdhsa_wavefront_size32 1
		.amdhsa_uses_dynamic_stack 0
		.amdhsa_enable_private_segment 0
		.amdhsa_system_sgpr_workgroup_id_x 1
		.amdhsa_system_sgpr_workgroup_id_y 0
		.amdhsa_system_sgpr_workgroup_id_z 0
		.amdhsa_system_sgpr_workgroup_info 0
		.amdhsa_system_vgpr_workitem_id 0
		.amdhsa_next_free_vgpr 101
		.amdhsa_next_free_sgpr 43
		.amdhsa_reserve_vcc 1
		.amdhsa_float_round_mode_32 0
		.amdhsa_float_round_mode_16_64 0
		.amdhsa_float_denorm_mode_32 3
		.amdhsa_float_denorm_mode_16_64 3
		.amdhsa_fp16_overflow 0
		.amdhsa_workgroup_processor_mode 1
		.amdhsa_memory_ordered 1
		.amdhsa_forward_progress 0
		.amdhsa_round_robin_scheduling 0
		.amdhsa_exception_fp_ieee_invalid_op 0
		.amdhsa_exception_fp_denorm_src 0
		.amdhsa_exception_fp_ieee_div_zero 0
		.amdhsa_exception_fp_ieee_overflow 0
		.amdhsa_exception_fp_ieee_underflow 0
		.amdhsa_exception_fp_ieee_inexact 0
		.amdhsa_exception_int_div_zero 0
	.end_amdhsa_kernel
	.text
.Lfunc_end0:
	.size	fft_rtc_back_len825_factors_11_5_5_3_wgs_55_tpt_55_sp_op_CI_CI_sbrr_dirReg, .Lfunc_end0-fft_rtc_back_len825_factors_11_5_5_3_wgs_55_tpt_55_sp_op_CI_CI_sbrr_dirReg
                                        ; -- End function
	.section	.AMDGPU.csdata,"",@progbits
; Kernel info:
; codeLenInByte = 12888
; NumSgprs: 45
; NumVgprs: 101
; ScratchSize: 0
; MemoryBound: 0
; FloatMode: 240
; IeeeMode: 1
; LDSByteSize: 0 bytes/workgroup (compile time only)
; SGPRBlocks: 5
; VGPRBlocks: 12
; NumSGPRsForWavesPerEU: 45
; NumVGPRsForWavesPerEU: 101
; Occupancy: 12
; WaveLimiterHint : 1
; COMPUTE_PGM_RSRC2:SCRATCH_EN: 0
; COMPUTE_PGM_RSRC2:USER_SGPR: 2
; COMPUTE_PGM_RSRC2:TRAP_HANDLER: 0
; COMPUTE_PGM_RSRC2:TGID_X_EN: 1
; COMPUTE_PGM_RSRC2:TGID_Y_EN: 0
; COMPUTE_PGM_RSRC2:TGID_Z_EN: 0
; COMPUTE_PGM_RSRC2:TIDIG_COMP_CNT: 0
	.text
	.p2alignl 7, 3214868480
	.fill 96, 4, 3214868480
	.type	__hip_cuid_97aa7dde08513538,@object ; @__hip_cuid_97aa7dde08513538
	.section	.bss,"aw",@nobits
	.globl	__hip_cuid_97aa7dde08513538
__hip_cuid_97aa7dde08513538:
	.byte	0                               ; 0x0
	.size	__hip_cuid_97aa7dde08513538, 1

	.ident	"AMD clang version 19.0.0git (https://github.com/RadeonOpenCompute/llvm-project roc-6.4.0 25133 c7fe45cf4b819c5991fe208aaa96edf142730f1d)"
	.section	".note.GNU-stack","",@progbits
	.addrsig
	.addrsig_sym __hip_cuid_97aa7dde08513538
	.amdgpu_metadata
---
amdhsa.kernels:
  - .args:
      - .actual_access:  read_only
        .address_space:  global
        .offset:         0
        .size:           8
        .value_kind:     global_buffer
      - .offset:         8
        .size:           8
        .value_kind:     by_value
      - .actual_access:  read_only
        .address_space:  global
        .offset:         16
        .size:           8
        .value_kind:     global_buffer
      - .actual_access:  read_only
        .address_space:  global
        .offset:         24
        .size:           8
        .value_kind:     global_buffer
      - .actual_access:  read_only
        .address_space:  global
        .offset:         32
        .size:           8
        .value_kind:     global_buffer
      - .offset:         40
        .size:           8
        .value_kind:     by_value
      - .actual_access:  read_only
        .address_space:  global
        .offset:         48
        .size:           8
        .value_kind:     global_buffer
      - .actual_access:  read_only
        .address_space:  global
        .offset:         56
        .size:           8
        .value_kind:     global_buffer
      - .offset:         64
        .size:           4
        .value_kind:     by_value
      - .actual_access:  read_only
        .address_space:  global
        .offset:         72
        .size:           8
        .value_kind:     global_buffer
      - .actual_access:  read_only
        .address_space:  global
        .offset:         80
        .size:           8
        .value_kind:     global_buffer
      - .actual_access:  read_only
        .address_space:  global
        .offset:         88
        .size:           8
        .value_kind:     global_buffer
      - .actual_access:  write_only
        .address_space:  global
        .offset:         96
        .size:           8
        .value_kind:     global_buffer
    .group_segment_fixed_size: 0
    .kernarg_segment_align: 8
    .kernarg_segment_size: 104
    .language:       OpenCL C
    .language_version:
      - 2
      - 0
    .max_flat_workgroup_size: 55
    .name:           fft_rtc_back_len825_factors_11_5_5_3_wgs_55_tpt_55_sp_op_CI_CI_sbrr_dirReg
    .private_segment_fixed_size: 0
    .sgpr_count:     45
    .sgpr_spill_count: 0
    .symbol:         fft_rtc_back_len825_factors_11_5_5_3_wgs_55_tpt_55_sp_op_CI_CI_sbrr_dirReg.kd
    .uniform_work_group_size: 1
    .uses_dynamic_stack: false
    .vgpr_count:     101
    .vgpr_spill_count: 0
    .wavefront_size: 32
    .workgroup_processor_mode: 1
amdhsa.target:   amdgcn-amd-amdhsa--gfx1201
amdhsa.version:
  - 1
  - 2
...

	.end_amdgpu_metadata
